;; amdgpu-corpus repo=ROCm/rocFFT kind=compiled arch=gfx1100 opt=O3
	.text
	.amdgcn_target "amdgcn-amd-amdhsa--gfx1100"
	.amdhsa_code_object_version 6
	.protected	fft_rtc_fwd_len2401_factors_7_7_7_7_wgs_49_tpt_49_halfLds_dp_ip_CI_sbrr_dirReg ; -- Begin function fft_rtc_fwd_len2401_factors_7_7_7_7_wgs_49_tpt_49_halfLds_dp_ip_CI_sbrr_dirReg
	.globl	fft_rtc_fwd_len2401_factors_7_7_7_7_wgs_49_tpt_49_halfLds_dp_ip_CI_sbrr_dirReg
	.p2align	8
	.type	fft_rtc_fwd_len2401_factors_7_7_7_7_wgs_49_tpt_49_halfLds_dp_ip_CI_sbrr_dirReg,@function
fft_rtc_fwd_len2401_factors_7_7_7_7_wgs_49_tpt_49_halfLds_dp_ip_CI_sbrr_dirReg: ; @fft_rtc_fwd_len2401_factors_7_7_7_7_wgs_49_tpt_49_halfLds_dp_ip_CI_sbrr_dirReg
; %bb.0:
	s_clause 0x2
	s_load_b64 s[12:13], s[0:1], 0x18
	s_load_b128 s[4:7], s[0:1], 0x0
	s_load_b64 s[10:11], s[0:1], 0x50
	v_mul_u32_u24_e32 v1, 0x53a, v0
	v_mov_b32_e32 v3, 0
	v_mov_b32_e32 v4, 0
	s_delay_alu instid0(VALU_DEP_3) | instskip(SKIP_1) | instid1(VALU_DEP_1)
	v_lshrrev_b32_e32 v2, 16, v1
	v_mov_b32_e32 v1, 0
	v_dual_mov_b32 v6, v1 :: v_dual_add_nc_u32 v5, s15, v2
	s_waitcnt lgkmcnt(0)
	s_load_b64 s[8:9], s[12:13], 0x0
	v_cmp_lt_u64_e64 s2, s[6:7], 2
	s_delay_alu instid0(VALU_DEP_1)
	s_and_b32 vcc_lo, exec_lo, s2
	s_cbranch_vccnz .LBB0_8
; %bb.1:
	s_load_b64 s[2:3], s[0:1], 0x10
	v_mov_b32_e32 v3, 0
	s_add_u32 s14, s12, 8
	v_mov_b32_e32 v4, 0
	s_addc_u32 s15, s13, 0
	s_mov_b64 s[18:19], 1
	s_waitcnt lgkmcnt(0)
	s_add_u32 s16, s2, 8
	s_addc_u32 s17, s3, 0
.LBB0_2:                                ; =>This Inner Loop Header: Depth=1
	s_load_b64 s[20:21], s[16:17], 0x0
                                        ; implicit-def: $vgpr7_vgpr8
	s_mov_b32 s2, exec_lo
	s_waitcnt lgkmcnt(0)
	v_or_b32_e32 v2, s21, v6
	s_delay_alu instid0(VALU_DEP_1)
	v_cmpx_ne_u64_e32 0, v[1:2]
	s_xor_b32 s3, exec_lo, s2
	s_cbranch_execz .LBB0_4
; %bb.3:                                ;   in Loop: Header=BB0_2 Depth=1
	v_cvt_f32_u32_e32 v2, s20
	v_cvt_f32_u32_e32 v7, s21
	s_sub_u32 s2, 0, s20
	s_subb_u32 s22, 0, s21
	s_delay_alu instid0(VALU_DEP_1) | instskip(NEXT) | instid1(VALU_DEP_1)
	v_fmac_f32_e32 v2, 0x4f800000, v7
	v_rcp_f32_e32 v2, v2
	s_waitcnt_depctr 0xfff
	v_mul_f32_e32 v2, 0x5f7ffffc, v2
	s_delay_alu instid0(VALU_DEP_1) | instskip(NEXT) | instid1(VALU_DEP_1)
	v_mul_f32_e32 v7, 0x2f800000, v2
	v_trunc_f32_e32 v7, v7
	s_delay_alu instid0(VALU_DEP_1) | instskip(SKIP_1) | instid1(VALU_DEP_2)
	v_fmac_f32_e32 v2, 0xcf800000, v7
	v_cvt_u32_f32_e32 v7, v7
	v_cvt_u32_f32_e32 v2, v2
	s_delay_alu instid0(VALU_DEP_2) | instskip(NEXT) | instid1(VALU_DEP_2)
	v_mul_lo_u32 v8, s2, v7
	v_mul_hi_u32 v9, s2, v2
	v_mul_lo_u32 v10, s22, v2
	s_delay_alu instid0(VALU_DEP_2) | instskip(SKIP_1) | instid1(VALU_DEP_2)
	v_add_nc_u32_e32 v8, v9, v8
	v_mul_lo_u32 v9, s2, v2
	v_add_nc_u32_e32 v8, v8, v10
	s_delay_alu instid0(VALU_DEP_2) | instskip(NEXT) | instid1(VALU_DEP_2)
	v_mul_hi_u32 v10, v2, v9
	v_mul_lo_u32 v11, v2, v8
	v_mul_hi_u32 v12, v2, v8
	v_mul_hi_u32 v13, v7, v9
	v_mul_lo_u32 v9, v7, v9
	v_mul_hi_u32 v14, v7, v8
	v_mul_lo_u32 v8, v7, v8
	v_add_co_u32 v10, vcc_lo, v10, v11
	v_add_co_ci_u32_e32 v11, vcc_lo, 0, v12, vcc_lo
	s_delay_alu instid0(VALU_DEP_2) | instskip(NEXT) | instid1(VALU_DEP_2)
	v_add_co_u32 v9, vcc_lo, v10, v9
	v_add_co_ci_u32_e32 v9, vcc_lo, v11, v13, vcc_lo
	v_add_co_ci_u32_e32 v10, vcc_lo, 0, v14, vcc_lo
	s_delay_alu instid0(VALU_DEP_2) | instskip(NEXT) | instid1(VALU_DEP_2)
	v_add_co_u32 v8, vcc_lo, v9, v8
	v_add_co_ci_u32_e32 v9, vcc_lo, 0, v10, vcc_lo
	s_delay_alu instid0(VALU_DEP_2) | instskip(NEXT) | instid1(VALU_DEP_2)
	v_add_co_u32 v2, vcc_lo, v2, v8
	v_add_co_ci_u32_e32 v7, vcc_lo, v7, v9, vcc_lo
	s_delay_alu instid0(VALU_DEP_2) | instskip(SKIP_1) | instid1(VALU_DEP_3)
	v_mul_hi_u32 v8, s2, v2
	v_mul_lo_u32 v10, s22, v2
	v_mul_lo_u32 v9, s2, v7
	s_delay_alu instid0(VALU_DEP_1) | instskip(SKIP_1) | instid1(VALU_DEP_2)
	v_add_nc_u32_e32 v8, v8, v9
	v_mul_lo_u32 v9, s2, v2
	v_add_nc_u32_e32 v8, v8, v10
	s_delay_alu instid0(VALU_DEP_2) | instskip(NEXT) | instid1(VALU_DEP_2)
	v_mul_hi_u32 v10, v2, v9
	v_mul_lo_u32 v11, v2, v8
	v_mul_hi_u32 v12, v2, v8
	v_mul_hi_u32 v13, v7, v9
	v_mul_lo_u32 v9, v7, v9
	v_mul_hi_u32 v14, v7, v8
	v_mul_lo_u32 v8, v7, v8
	v_add_co_u32 v10, vcc_lo, v10, v11
	v_add_co_ci_u32_e32 v11, vcc_lo, 0, v12, vcc_lo
	s_delay_alu instid0(VALU_DEP_2) | instskip(NEXT) | instid1(VALU_DEP_2)
	v_add_co_u32 v9, vcc_lo, v10, v9
	v_add_co_ci_u32_e32 v9, vcc_lo, v11, v13, vcc_lo
	v_add_co_ci_u32_e32 v10, vcc_lo, 0, v14, vcc_lo
	s_delay_alu instid0(VALU_DEP_2) | instskip(NEXT) | instid1(VALU_DEP_2)
	v_add_co_u32 v8, vcc_lo, v9, v8
	v_add_co_ci_u32_e32 v9, vcc_lo, 0, v10, vcc_lo
	s_delay_alu instid0(VALU_DEP_2) | instskip(NEXT) | instid1(VALU_DEP_2)
	v_add_co_u32 v2, vcc_lo, v2, v8
	v_add_co_ci_u32_e32 v13, vcc_lo, v7, v9, vcc_lo
	s_delay_alu instid0(VALU_DEP_2) | instskip(SKIP_1) | instid1(VALU_DEP_3)
	v_mul_hi_u32 v14, v5, v2
	v_mad_u64_u32 v[9:10], null, v6, v2, 0
	v_mad_u64_u32 v[7:8], null, v5, v13, 0
	;; [unrolled: 1-line block ×3, first 2 shown]
	s_delay_alu instid0(VALU_DEP_2) | instskip(NEXT) | instid1(VALU_DEP_3)
	v_add_co_u32 v2, vcc_lo, v14, v7
	v_add_co_ci_u32_e32 v7, vcc_lo, 0, v8, vcc_lo
	s_delay_alu instid0(VALU_DEP_2) | instskip(NEXT) | instid1(VALU_DEP_2)
	v_add_co_u32 v2, vcc_lo, v2, v9
	v_add_co_ci_u32_e32 v2, vcc_lo, v7, v10, vcc_lo
	v_add_co_ci_u32_e32 v7, vcc_lo, 0, v12, vcc_lo
	s_delay_alu instid0(VALU_DEP_2) | instskip(NEXT) | instid1(VALU_DEP_2)
	v_add_co_u32 v2, vcc_lo, v2, v11
	v_add_co_ci_u32_e32 v9, vcc_lo, 0, v7, vcc_lo
	s_delay_alu instid0(VALU_DEP_2) | instskip(SKIP_1) | instid1(VALU_DEP_3)
	v_mul_lo_u32 v10, s21, v2
	v_mad_u64_u32 v[7:8], null, s20, v2, 0
	v_mul_lo_u32 v11, s20, v9
	s_delay_alu instid0(VALU_DEP_2) | instskip(NEXT) | instid1(VALU_DEP_2)
	v_sub_co_u32 v7, vcc_lo, v5, v7
	v_add3_u32 v8, v8, v11, v10
	s_delay_alu instid0(VALU_DEP_1) | instskip(NEXT) | instid1(VALU_DEP_1)
	v_sub_nc_u32_e32 v10, v6, v8
	v_subrev_co_ci_u32_e64 v10, s2, s21, v10, vcc_lo
	v_add_co_u32 v11, s2, v2, 2
	s_delay_alu instid0(VALU_DEP_1) | instskip(SKIP_3) | instid1(VALU_DEP_3)
	v_add_co_ci_u32_e64 v12, s2, 0, v9, s2
	v_sub_co_u32 v13, s2, v7, s20
	v_sub_co_ci_u32_e32 v8, vcc_lo, v6, v8, vcc_lo
	v_subrev_co_ci_u32_e64 v10, s2, 0, v10, s2
	v_cmp_le_u32_e32 vcc_lo, s20, v13
	s_delay_alu instid0(VALU_DEP_3) | instskip(SKIP_1) | instid1(VALU_DEP_4)
	v_cmp_eq_u32_e64 s2, s21, v8
	v_cndmask_b32_e64 v13, 0, -1, vcc_lo
	v_cmp_le_u32_e32 vcc_lo, s21, v10
	v_cndmask_b32_e64 v14, 0, -1, vcc_lo
	v_cmp_le_u32_e32 vcc_lo, s20, v7
	;; [unrolled: 2-line block ×3, first 2 shown]
	v_cndmask_b32_e64 v15, 0, -1, vcc_lo
	v_cmp_eq_u32_e32 vcc_lo, s21, v10
	s_delay_alu instid0(VALU_DEP_2) | instskip(SKIP_3) | instid1(VALU_DEP_3)
	v_cndmask_b32_e64 v7, v15, v7, s2
	v_cndmask_b32_e32 v10, v14, v13, vcc_lo
	v_add_co_u32 v13, vcc_lo, v2, 1
	v_add_co_ci_u32_e32 v14, vcc_lo, 0, v9, vcc_lo
	v_cmp_ne_u32_e32 vcc_lo, 0, v10
	s_delay_alu instid0(VALU_DEP_2) | instskip(NEXT) | instid1(VALU_DEP_4)
	v_cndmask_b32_e32 v8, v14, v12, vcc_lo
	v_cndmask_b32_e32 v10, v13, v11, vcc_lo
	v_cmp_ne_u32_e32 vcc_lo, 0, v7
	s_delay_alu instid0(VALU_DEP_2)
	v_dual_cndmask_b32 v7, v2, v10 :: v_dual_cndmask_b32 v8, v9, v8
.LBB0_4:                                ;   in Loop: Header=BB0_2 Depth=1
	s_and_not1_saveexec_b32 s2, s3
	s_cbranch_execz .LBB0_6
; %bb.5:                                ;   in Loop: Header=BB0_2 Depth=1
	v_cvt_f32_u32_e32 v2, s20
	s_sub_i32 s3, 0, s20
	s_delay_alu instid0(VALU_DEP_1) | instskip(SKIP_2) | instid1(VALU_DEP_1)
	v_rcp_iflag_f32_e32 v2, v2
	s_waitcnt_depctr 0xfff
	v_mul_f32_e32 v2, 0x4f7ffffe, v2
	v_cvt_u32_f32_e32 v2, v2
	s_delay_alu instid0(VALU_DEP_1) | instskip(NEXT) | instid1(VALU_DEP_1)
	v_mul_lo_u32 v7, s3, v2
	v_mul_hi_u32 v7, v2, v7
	s_delay_alu instid0(VALU_DEP_1) | instskip(NEXT) | instid1(VALU_DEP_1)
	v_add_nc_u32_e32 v2, v2, v7
	v_mul_hi_u32 v2, v5, v2
	s_delay_alu instid0(VALU_DEP_1) | instskip(SKIP_1) | instid1(VALU_DEP_2)
	v_mul_lo_u32 v7, v2, s20
	v_add_nc_u32_e32 v8, 1, v2
	v_sub_nc_u32_e32 v7, v5, v7
	s_delay_alu instid0(VALU_DEP_1) | instskip(SKIP_1) | instid1(VALU_DEP_2)
	v_subrev_nc_u32_e32 v9, s20, v7
	v_cmp_le_u32_e32 vcc_lo, s20, v7
	v_dual_cndmask_b32 v7, v7, v9 :: v_dual_cndmask_b32 v2, v2, v8
	s_delay_alu instid0(VALU_DEP_1) | instskip(NEXT) | instid1(VALU_DEP_2)
	v_cmp_le_u32_e32 vcc_lo, s20, v7
	v_add_nc_u32_e32 v8, 1, v2
	s_delay_alu instid0(VALU_DEP_1)
	v_dual_cndmask_b32 v7, v2, v8 :: v_dual_mov_b32 v8, v1
.LBB0_6:                                ;   in Loop: Header=BB0_2 Depth=1
	s_or_b32 exec_lo, exec_lo, s2
	s_load_b64 s[2:3], s[14:15], 0x0
	s_delay_alu instid0(VALU_DEP_1) | instskip(NEXT) | instid1(VALU_DEP_2)
	v_mul_lo_u32 v2, v8, s20
	v_mul_lo_u32 v11, v7, s21
	v_mad_u64_u32 v[9:10], null, v7, s20, 0
	s_add_u32 s18, s18, 1
	s_addc_u32 s19, s19, 0
	s_add_u32 s14, s14, 8
	s_addc_u32 s15, s15, 0
	;; [unrolled: 2-line block ×3, first 2 shown]
	s_delay_alu instid0(VALU_DEP_1) | instskip(SKIP_1) | instid1(VALU_DEP_2)
	v_add3_u32 v2, v10, v11, v2
	v_sub_co_u32 v9, vcc_lo, v5, v9
	v_sub_co_ci_u32_e32 v2, vcc_lo, v6, v2, vcc_lo
	s_waitcnt lgkmcnt(0)
	s_delay_alu instid0(VALU_DEP_2) | instskip(NEXT) | instid1(VALU_DEP_2)
	v_mul_lo_u32 v10, s3, v9
	v_mul_lo_u32 v2, s2, v2
	v_mad_u64_u32 v[5:6], null, s2, v9, v[3:4]
	v_cmp_ge_u64_e64 s2, s[18:19], s[6:7]
	s_delay_alu instid0(VALU_DEP_1) | instskip(NEXT) | instid1(VALU_DEP_2)
	s_and_b32 vcc_lo, exec_lo, s2
	v_add3_u32 v4, v10, v6, v2
	s_delay_alu instid0(VALU_DEP_3)
	v_mov_b32_e32 v3, v5
	s_cbranch_vccnz .LBB0_9
; %bb.7:                                ;   in Loop: Header=BB0_2 Depth=1
	v_dual_mov_b32 v5, v7 :: v_dual_mov_b32 v6, v8
	s_branch .LBB0_2
.LBB0_8:
	v_dual_mov_b32 v8, v6 :: v_dual_mov_b32 v7, v5
.LBB0_9:
	s_lshl_b64 s[2:3], s[6:7], 3
	v_mul_hi_u32 v1, 0x539782a, v0
	s_add_u32 s2, s12, s2
	s_addc_u32 s3, s13, s3
	s_load_b64 s[0:1], s[0:1], 0x20
	s_load_b64 s[2:3], s[2:3], 0x0
                                        ; implicit-def: $vgpr225
                                        ; implicit-def: $vgpr248
                                        ; implicit-def: $vgpr249
                                        ; implicit-def: $vgpr250
                                        ; implicit-def: $vgpr251
                                        ; implicit-def: $vgpr224
	s_delay_alu instid0(VALU_DEP_1) | instskip(NEXT) | instid1(VALU_DEP_1)
	v_mul_u32_u24_e32 v1, 49, v1
	v_sub_nc_u32_e32 v227, v0, v1
	s_waitcnt lgkmcnt(0)
	v_cmp_gt_u64_e32 vcc_lo, s[0:1], v[7:8]
	v_mad_u64_u32 v[0:1], null, s2, v7, v[3:4]
	s_delay_alu instid0(VALU_DEP_3)
	v_add_nc_u32_e32 v3, 49, v227
	v_mul_lo_u32 v2, s2, v8
	v_mul_lo_u32 v5, s3, v7
	v_cmp_le_u64_e64 s0, s[0:1], v[7:8]
	scratch_store_b32 off, v3, off offset:520 ; 4-byte Folded Spill
	v_add_nc_u32_e32 v3, 0x62, v227
	v_add3_u32 v1, v5, v1, v2
	scratch_store_b32 off, v3, off offset:492 ; 4-byte Folded Spill
	v_add_nc_u32_e32 v3, 0x93, v227
	v_add_nc_u32_e32 v2, 0x126, v227
	scratch_store_b32 off, v3, off offset:464 ; 4-byte Folded Spill
	v_add_nc_u32_e32 v3, 0xc4, v227
	s_clause 0x1
	scratch_store_b32 off, v2, off offset:448
	scratch_store_b32 off, v3, off offset:456
	v_add_nc_u32_e32 v3, 0xf5, v227
	scratch_store_b32 off, v3, off offset:452 ; 4-byte Folded Spill
	s_and_saveexec_b32 s1, s0
	s_delay_alu instid0(SALU_CYCLE_1)
	s_xor_b32 s0, exec_lo, s1
; %bb.10:
	v_add_nc_u32_e32 v225, 49, v227
	v_add_nc_u32_e32 v248, 0x62, v227
	;; [unrolled: 1-line block ×6, first 2 shown]
; %bb.11:
	s_or_saveexec_b32 s1, s0
	v_lshlrev_b64 v[0:1], 4, v[0:1]
                                        ; implicit-def: $vgpr50_vgpr51
                                        ; implicit-def: $vgpr42_vgpr43
                                        ; implicit-def: $vgpr34_vgpr35
                                        ; implicit-def: $vgpr30_vgpr31
                                        ; implicit-def: $vgpr38_vgpr39
                                        ; implicit-def: $vgpr46_vgpr47
                                        ; implicit-def: $vgpr2_vgpr3
                                        ; implicit-def: $vgpr58_vgpr59
                                        ; implicit-def: $vgpr74_vgpr75
                                        ; implicit-def: $vgpr66_vgpr67
                                        ; implicit-def: $vgpr62_vgpr63
                                        ; implicit-def: $vgpr70_vgpr71
                                        ; implicit-def: $vgpr54_vgpr55
                                        ; implicit-def: $vgpr6_vgpr7
                                        ; implicit-def: $vgpr82_vgpr83
                                        ; implicit-def: $vgpr98_vgpr99
                                        ; implicit-def: $vgpr90_vgpr91
                                        ; implicit-def: $vgpr86_vgpr87
                                        ; implicit-def: $vgpr94_vgpr95
                                        ; implicit-def: $vgpr78_vgpr79
                                        ; implicit-def: $vgpr10_vgpr11
                                        ; implicit-def: $vgpr122_vgpr123
                                        ; implicit-def: $vgpr114_vgpr115
                                        ; implicit-def: $vgpr106_vgpr107
                                        ; implicit-def: $vgpr102_vgpr103
                                        ; implicit-def: $vgpr110_vgpr111
                                        ; implicit-def: $vgpr118_vgpr119
                                        ; implicit-def: $vgpr14_vgpr15
                                        ; implicit-def: $vgpr146_vgpr147
                                        ; implicit-def: $vgpr138_vgpr139
                                        ; implicit-def: $vgpr130_vgpr131
                                        ; implicit-def: $vgpr126_vgpr127
                                        ; implicit-def: $vgpr134_vgpr135
                                        ; implicit-def: $vgpr142_vgpr143
                                        ; implicit-def: $vgpr18_vgpr19
                                        ; implicit-def: $vgpr174_vgpr175
                                        ; implicit-def: $vgpr166_vgpr167
                                        ; implicit-def: $vgpr158_vgpr159
                                        ; implicit-def: $vgpr154_vgpr155
                                        ; implicit-def: $vgpr162_vgpr163
                                        ; implicit-def: $vgpr170_vgpr171
                                        ; implicit-def: $vgpr22_vgpr23
                                        ; implicit-def: $vgpr194_vgpr195
                                        ; implicit-def: $vgpr190_vgpr191
                                        ; implicit-def: $vgpr182_vgpr183
                                        ; implicit-def: $vgpr178_vgpr179
                                        ; implicit-def: $vgpr186_vgpr187
                                        ; implicit-def: $vgpr150_vgpr151
                                        ; implicit-def: $vgpr26_vgpr27
	scratch_store_b64 off, v[0:1], off offset:24 ; 8-byte Folded Spill
	v_add_nc_u32_e32 v0, 0x157, v227
	scratch_store_b32 off, v0, off offset:552 ; 4-byte Folded Spill
	v_add_nc_u32_e32 v0, 0x2ae, v227
	scratch_store_b32 off, v0, off offset:548 ; 4-byte Folded Spill
	;; [unrolled: 2-line block ×21, first 2 shown]
	s_xor_b32 exec_lo, exec_lo, s1
	s_cbranch_execz .LBB0_13
; %bb.12:
	v_add_nc_u32_e32 v13, 0x2ae, v227
	v_mad_u64_u32 v[0:1], null, s8, v227, 0
	v_add_nc_u32_e32 v15, 0x55c, v227
	v_add_nc_u32_e32 v33, 0x58d, v227
	s_delay_alu instid0(VALU_DEP_4) | instskip(SKIP_2) | instid1(VALU_DEP_4)
	v_mad_u64_u32 v[6:7], null, s8, v13, 0
	v_add_nc_u32_e32 v12, 0x157, v227
	v_add_nc_u32_e32 v44, 0x310, v227
	v_mad_u64_u32 v[30:31], null, s8, v33, 0
	v_add_nc_u32_e32 v50, 0x715, v227
	s_delay_alu instid0(VALU_DEP_4) | instskip(NEXT) | instid1(VALU_DEP_4)
	v_mad_u64_u32 v[2:3], null, s8, v12, 0
	v_mad_u64_u32 v[40:41], null, s8, v44, 0
	s_delay_alu instid0(VALU_DEP_3)
	v_mad_u64_u32 v[46:47], null, s8, v50, 0
	v_add_nc_u32_e32 v228, 0x93, v227
	v_add_nc_u32_e32 v56, 0x1ea, v227
	v_mad_u64_u32 v[4:5], null, s9, v227, v[1:2]
	v_mov_b32_e32 v1, v7
	v_add_nc_u32_e32 v5, 0x405, v227
	s_delay_alu instid0(VALU_DEP_4)
	v_mad_u64_u32 v[52:53], null, s8, v56, 0
	v_add_nc_u32_e32 v62, 0x5ef, v227
	v_add_nc_u32_e32 v18, 0x6b3, v227
	v_mad_u64_u32 v[10:11], null, s9, v12, v[3:4]
	v_mad_u64_u32 v[11:12], null, s9, v13, v[1:2]
	v_mov_b32_e32 v1, v4
	scratch_load_b64 v[3:4], off, off offset:24 ; 8-byte Folded Reload
	v_mad_u64_u32 v[8:9], null, s8, v5, 0
	v_mad_u64_u32 v[12:13], null, s8, v15, 0
	v_lshlrev_b64 v[0:1], 4, v[0:1]
	v_dual_mov_b32 v7, v11 :: v_dual_add_nc_u32 v230, 49, v227
	v_mad_u64_u32 v[58:59], null, s8, v62, 0
	v_add_nc_u32_e32 v226, 0xc4, v227
	s_delay_alu instid0(VALU_DEP_3)
	v_lshlrev_b64 v[6:7], 4, v[6:7]
	v_add_nc_u32_e32 v70, 0x372, v227
	v_add_nc_u32_e32 v84, 0x8ff, v227
	;; [unrolled: 1-line block ×3, first 2 shown]
	v_mad_u64_u32 v[64:65], null, s8, v226, 0
	v_add_nc_u32_e32 v88, 0x7d9, v227
	v_add_nc_u32_e32 v26, 0x188, v227
	;; [unrolled: 1-line block ×6, first 2 shown]
	v_mad_u64_u32 v[22:23], null, s8, v26, 0
	v_mad_u64_u32 v[24:25], null, s8, v28, 0
	v_add_nc_u32_e32 v19, 0x80a, v227
	v_mad_u64_u32 v[36:37], null, s8, v229, 0
	v_dual_mov_b32 v248, v229 :: v_dual_add_nc_u32 v45, 0x5be, v227
	v_add_nc_u32_e32 v57, 0x498, v227
	v_add_nc_u32_e32 v63, 0x89d, v227
	;; [unrolled: 1-line block ×6, first 2 shown]
	s_delay_alu instid0(VALU_DEP_1)
	v_mov_b32_e32 v251, v225
	s_waitcnt vmcnt(0)
	v_add_co_u32 v20, s0, s10, v3
	v_mov_b32_e32 v3, v10
	v_add_co_ci_u32_e64 v21, s0, s11, v4, s0
	v_mov_b32_e32 v4, v9
	s_delay_alu instid0(VALU_DEP_3) | instskip(SKIP_1) | instid1(VALU_DEP_1)
	v_lshlrev_b64 v[9:10], 4, v[2:3]
	v_add_co_u32 v2, s0, v20, v0
	v_add_co_ci_u32_e64 v3, s0, v21, v1, s0
	s_delay_alu instid0(VALU_DEP_4) | instskip(NEXT) | instid1(VALU_DEP_4)
	v_mad_u64_u32 v[0:1], null, s9, v5, v[4:5]
	v_add_co_u32 v4, s0, v20, v9
	v_mov_b32_e32 v1, v13
	v_add_co_ci_u32_e64 v5, s0, v21, v10, s0
	v_mad_u64_u32 v[10:11], null, s8, v18, 0
	v_mov_b32_e32 v9, v0
	v_add_co_u32 v0, s0, v20, v6
	v_mad_u64_u32 v[13:14], null, s9, v15, v[1:2]
	v_add_co_ci_u32_e64 v1, s0, v21, v7, s0
	s_delay_alu instid0(VALU_DEP_4) | instskip(SKIP_2) | instid1(VALU_DEP_2)
	v_lshlrev_b64 v[6:7], 4, v[8:9]
	v_mov_b32_e32 v8, v11
	v_mad_u64_u32 v[14:15], null, s8, v19, 0
	v_mad_u64_u32 v[16:17], null, s9, v18, v[8:9]
	v_lshlrev_b64 v[8:9], 4, v[12:13]
	v_mad_u64_u32 v[17:18], null, s8, v230, 0
	s_delay_alu instid0(VALU_DEP_4) | instskip(SKIP_3) | instid1(VALU_DEP_4)
	v_mov_b32_e32 v12, v15
	v_add_co_u32 v6, s0, v20, v6
	v_mov_b32_e32 v11, v16
	v_add_co_ci_u32_e64 v7, s0, v21, v7, s0
	v_mad_u64_u32 v[15:16], null, s9, v19, v[12:13]
	v_mov_b32_e32 v12, v18
	s_delay_alu instid0(VALU_DEP_4) | instskip(SKIP_1) | instid1(VALU_DEP_1)
	v_lshlrev_b64 v[10:11], 4, v[10:11]
	v_add_co_u32 v8, s0, v20, v8
	v_add_co_ci_u32_e64 v9, s0, v21, v9, s0
	s_delay_alu instid0(VALU_DEP_4) | instskip(SKIP_3) | instid1(VALU_DEP_1)
	v_mad_u64_u32 v[18:19], null, s9, v230, v[12:13]
	v_lshlrev_b64 v[12:13], 4, v[14:15]
	v_mov_b32_e32 v14, v23
	v_add_co_u32 v10, s0, v20, v10
	v_add_co_ci_u32_e64 v11, s0, v21, v11, s0
	s_delay_alu instid0(VALU_DEP_3) | instskip(SKIP_3) | instid1(VALU_DEP_1)
	v_mad_u64_u32 v[15:16], null, s9, v26, v[14:15]
	v_dual_mov_b32 v14, v25 :: v_dual_add_nc_u32 v25, 0x436, v227
	v_lshlrev_b64 v[16:17], 4, v[17:18]
	v_add_co_u32 v12, s0, v20, v12
	v_add_co_ci_u32_e64 v13, s0, v21, v13, s0
	s_delay_alu instid0(VALU_DEP_4) | instskip(SKIP_3) | instid1(VALU_DEP_3)
	v_mad_u64_u32 v[26:27], null, s8, v25, 0
	v_mov_b32_e32 v23, v15
	v_mad_u64_u32 v[18:19], null, s9, v28, v[14:15]
	v_add_co_u32 v14, s0, v20, v16
	v_lshlrev_b64 v[22:23], 4, v[22:23]
	v_mov_b32_e32 v16, v27
	v_add_co_ci_u32_e64 v15, s0, v21, v17, s0
	s_delay_alu instid0(VALU_DEP_2) | instskip(SKIP_2) | instid1(VALU_DEP_1)
	v_mad_u64_u32 v[27:28], null, s9, v25, v[16:17]
	v_mov_b32_e32 v25, v18
	v_add_co_u32 v16, s0, v20, v22
	v_add_co_ci_u32_e64 v17, s0, v21, v23, s0
	s_delay_alu instid0(VALU_DEP_3) | instskip(SKIP_3) | instid1(VALU_DEP_4)
	v_lshlrev_b64 v[18:19], 4, v[24:25]
	v_mad_u64_u32 v[23:24], null, s8, v32, 0
	v_mov_b32_e32 v22, v31
	v_lshlrev_b64 v[25:26], 4, v[26:27]
	v_add_co_u32 v18, s0, v20, v18
	s_delay_alu instid0(VALU_DEP_1) | instskip(NEXT) | instid1(VALU_DEP_4)
	v_add_co_ci_u32_e64 v19, s0, v21, v19, s0
	v_mad_u64_u32 v[28:29], null, s9, v33, v[22:23]
	v_mov_b32_e32 v22, v24
	s_delay_alu instid0(VALU_DEP_2) | instskip(NEXT) | instid1(VALU_DEP_1)
	v_dual_mov_b32 v31, v28 :: v_dual_add_nc_u32 v24, 0x83b, v227
	v_mad_u64_u32 v[34:35], null, s8, v24, 0
	s_delay_alu instid0(VALU_DEP_3) | instskip(SKIP_1) | instid1(VALU_DEP_1)
	v_mad_u64_u32 v[27:28], null, s9, v32, v[22:23]
	v_add_co_u32 v28, s0, v20, v25
	v_add_co_ci_u32_e64 v29, s0, v21, v26, s0
	s_delay_alu instid0(VALU_DEP_4) | instskip(SKIP_1) | instid1(VALU_DEP_2)
	v_mov_b32_e32 v22, v35
	v_lshlrev_b64 v[25:26], 4, v[30:31]
	v_mad_u64_u32 v[32:33], null, s9, v24, v[22:23]
	v_mov_b32_e32 v24, v27
	s_delay_alu instid0(VALU_DEP_3) | instskip(NEXT) | instid1(VALU_DEP_1)
	v_add_co_u32 v30, s0, v20, v25
	v_add_co_ci_u32_e64 v31, s0, v21, v26, s0
	v_mad_u64_u32 v[25:26], null, s8, v39, 0
	v_mov_b32_e32 v35, v32
	v_lshlrev_b64 v[22:23], 4, v[23:24]
	v_mov_b32_e32 v24, v37
	s_delay_alu instid0(VALU_DEP_2) | instskip(NEXT) | instid1(VALU_DEP_2)
	v_add_co_u32 v32, s0, v20, v22
	v_mad_u64_u32 v[37:38], null, s9, v229, v[24:25]
	s_delay_alu instid0(VALU_DEP_4) | instskip(SKIP_2) | instid1(VALU_DEP_2)
	v_add_co_ci_u32_e64 v33, s0, v21, v23, s0
	v_lshlrev_b64 v[22:23], 4, v[34:35]
	v_mov_b32_e32 v24, v26
	v_add_co_u32 v34, s0, v20, v22
	s_delay_alu instid0(VALU_DEP_2) | instskip(SKIP_4) | instid1(VALU_DEP_4)
	v_mad_u64_u32 v[26:27], null, s9, v39, v[24:25]
	v_add_nc_u32_e32 v27, 0x467, v227
	v_add_co_ci_u32_e64 v35, s0, v21, v23, s0
	v_lshlrev_b64 v[23:24], 4, v[36:37]
	v_mov_b32_e32 v22, v41
	v_mad_u64_u32 v[42:43], null, s8, v27, 0
	s_delay_alu instid0(VALU_DEP_2)
	v_mad_u64_u32 v[38:39], null, s9, v44, v[22:23]
	v_add_co_u32 v36, s0, v20, v23
	v_lshlrev_b64 v[22:23], 4, v[25:26]
	v_mad_u64_u32 v[25:26], null, s8, v45, 0
	v_add_co_ci_u32_e64 v37, s0, v21, v24, s0
	v_dual_mov_b32 v24, v43 :: v_dual_mov_b32 v41, v38
	s_delay_alu instid0(VALU_DEP_4) | instskip(NEXT) | instid1(VALU_DEP_1)
	v_add_co_u32 v38, s0, v20, v22
	v_add_co_ci_u32_e64 v39, s0, v21, v23, s0
	s_delay_alu instid0(VALU_DEP_3) | instskip(NEXT) | instid1(VALU_DEP_4)
	v_mad_u64_u32 v[43:44], null, s9, v27, v[24:25]
	v_lshlrev_b64 v[22:23], 4, v[40:41]
	v_mov_b32_e32 v24, v26
	s_delay_alu instid0(VALU_DEP_2) | instskip(NEXT) | instid1(VALU_DEP_2)
	v_add_co_u32 v40, s0, v20, v22
	v_mad_u64_u32 v[26:27], null, s9, v45, v[24:25]
	s_delay_alu instid0(VALU_DEP_4) | instskip(SKIP_2) | instid1(VALU_DEP_1)
	v_add_co_ci_u32_e64 v41, s0, v21, v23, s0
	v_lshlrev_b64 v[23:24], 4, v[42:43]
	v_dual_mov_b32 v22, v47 :: v_dual_add_nc_u32 v27, 0x86c, v227
	v_mad_u64_u32 v[44:45], null, s9, v50, v[22:23]
	s_delay_alu instid0(VALU_DEP_2)
	v_mad_u64_u32 v[48:49], null, s8, v27, 0
	v_add_co_u32 v42, s0, v20, v23
	v_lshlrev_b64 v[22:23], 4, v[25:26]
	v_mad_u64_u32 v[25:26], null, s8, v228, 0
	v_add_co_ci_u32_e64 v43, s0, v21, v24, s0
	v_dual_mov_b32 v24, v49 :: v_dual_mov_b32 v47, v44
	s_delay_alu instid0(VALU_DEP_4) | instskip(NEXT) | instid1(VALU_DEP_1)
	v_add_co_u32 v44, s0, v20, v22
	v_add_co_ci_u32_e64 v45, s0, v21, v23, s0
	s_delay_alu instid0(VALU_DEP_3) | instskip(NEXT) | instid1(VALU_DEP_4)
	v_mad_u64_u32 v[49:50], null, s9, v27, v[24:25]
	v_lshlrev_b64 v[22:23], 4, v[46:47]
	v_mov_b32_e32 v24, v26
	s_delay_alu instid0(VALU_DEP_2) | instskip(NEXT) | instid1(VALU_DEP_2)
	v_add_co_u32 v46, s0, v20, v22
	v_mad_u64_u32 v[26:27], null, s9, v228, v[24:25]
	s_delay_alu instid0(VALU_DEP_4) | instskip(SKIP_2) | instid1(VALU_DEP_1)
	v_add_co_ci_u32_e64 v47, s0, v21, v23, s0
	v_lshlrev_b64 v[23:24], 4, v[48:49]
	v_dual_mov_b32 v22, v53 :: v_dual_add_nc_u32 v27, 0x341, v227
	v_mad_u64_u32 v[50:51], null, s9, v56, v[22:23]
	s_delay_alu instid0(VALU_DEP_2)
	v_mad_u64_u32 v[54:55], null, s8, v27, 0
	v_add_co_u32 v48, s0, v20, v23
	v_lshlrev_b64 v[22:23], 4, v[25:26]
	v_mad_u64_u32 v[25:26], null, s8, v57, 0
	v_add_co_ci_u32_e64 v49, s0, v21, v24, s0
	v_dual_mov_b32 v24, v55 :: v_dual_mov_b32 v53, v50
	s_delay_alu instid0(VALU_DEP_4) | instskip(NEXT) | instid1(VALU_DEP_1)
	v_add_co_u32 v50, s0, v20, v22
	v_add_co_ci_u32_e64 v51, s0, v21, v23, s0
	s_delay_alu instid0(VALU_DEP_3) | instskip(NEXT) | instid1(VALU_DEP_4)
	v_mad_u64_u32 v[55:56], null, s9, v27, v[24:25]
	v_lshlrev_b64 v[22:23], 4, v[52:53]
	v_mov_b32_e32 v24, v26
	s_delay_alu instid0(VALU_DEP_1) | instskip(NEXT) | instid1(VALU_DEP_3)
	v_mad_u64_u32 v[26:27], null, s9, v57, v[24:25]
	v_add_co_u32 v52, s0, v20, v22
	v_dual_mov_b32 v24, v59 :: v_dual_add_nc_u32 v27, 0x746, v227
	v_add_co_ci_u32_e64 v53, s0, v21, v23, s0
	v_lshlrev_b64 v[22:23], 4, v[54:55]
	s_delay_alu instid0(VALU_DEP_3) | instskip(NEXT) | instid1(VALU_DEP_4)
	v_mad_u64_u32 v[60:61], null, s8, v27, 0
	v_mad_u64_u32 v[56:57], null, s9, v62, v[24:25]
	s_delay_alu instid0(VALU_DEP_3) | instskip(NEXT) | instid1(VALU_DEP_1)
	v_add_co_u32 v54, s0, v20, v22
	v_add_co_ci_u32_e64 v55, s0, v21, v23, s0
	v_lshlrev_b64 v[23:24], 4, v[25:26]
	v_mad_u64_u32 v[25:26], null, s8, v63, 0
	v_dual_mov_b32 v22, v61 :: v_dual_mov_b32 v59, v56
	s_delay_alu instid0(VALU_DEP_3) | instskip(NEXT) | instid1(VALU_DEP_2)
	v_add_co_u32 v56, s0, v20, v23
	v_mad_u64_u32 v[61:62], null, s9, v27, v[22:23]
	v_add_co_ci_u32_e64 v57, s0, v21, v24, s0
	s_delay_alu instid0(VALU_DEP_4) | instskip(SKIP_1) | instid1(VALU_DEP_1)
	v_lshlrev_b64 v[22:23], 4, v[58:59]
	v_mov_b32_e32 v24, v26
	v_mad_u64_u32 v[26:27], null, s9, v63, v[24:25]
	s_delay_alu instid0(VALU_DEP_3) | instskip(SKIP_3) | instid1(VALU_DEP_3)
	v_add_co_u32 v58, s0, v20, v22
	v_dual_mov_b32 v24, v65 :: v_dual_add_nc_u32 v27, 0x21b, v227
	v_add_co_ci_u32_e64 v59, s0, v21, v23, s0
	v_lshlrev_b64 v[22:23], 4, v[60:61]
	v_mad_u64_u32 v[66:67], null, s8, v27, 0
	s_delay_alu instid0(VALU_DEP_4) | instskip(NEXT) | instid1(VALU_DEP_3)
	v_mad_u64_u32 v[62:63], null, s9, v226, v[24:25]
	v_add_co_u32 v60, s0, v20, v22
	s_delay_alu instid0(VALU_DEP_1) | instskip(SKIP_4) | instid1(VALU_DEP_4)
	v_add_co_ci_u32_e64 v61, s0, v21, v23, s0
	v_lshlrev_b64 v[22:23], 4, v[25:26]
	v_mad_u64_u32 v[25:26], null, s8, v70, 0
	v_dual_mov_b32 v24, v67 :: v_dual_mov_b32 v65, v62
	v_mov_b32_e32 v249, v228
	v_add_co_u32 v62, s0, v20, v22
	s_delay_alu instid0(VALU_DEP_1) | instskip(NEXT) | instid1(VALU_DEP_4)
	v_add_co_ci_u32_e64 v63, s0, v21, v23, s0
	v_mad_u64_u32 v[67:68], null, s9, v27, v[24:25]
	v_lshlrev_b64 v[22:23], 4, v[64:65]
	v_mov_b32_e32 v24, v26
	v_mad_u64_u32 v[68:69], null, s8, v71, 0
	s_delay_alu instid0(VALU_DEP_2) | instskip(NEXT) | instid1(VALU_DEP_4)
	v_mad_u64_u32 v[26:27], null, s9, v70, v[24:25]
	v_add_co_u32 v64, s0, v20, v22
	v_add_nc_u32_e32 v27, 0x620, v227
	v_add_co_ci_u32_e64 v65, s0, v21, v23, s0
	v_lshlrev_b64 v[22:23], 4, v[66:67]
	v_mov_b32_e32 v24, v69
	s_delay_alu instid0(VALU_DEP_4) | instskip(NEXT) | instid1(VALU_DEP_2)
	v_mad_u64_u32 v[66:67], null, s8, v27, 0
	v_mad_u64_u32 v[69:70], null, s9, v71, v[24:25]
	s_delay_alu instid0(VALU_DEP_4) | instskip(NEXT) | instid1(VALU_DEP_1)
	v_add_co_u32 v70, s0, v20, v22
	v_add_co_ci_u32_e64 v71, s0, v21, v23, s0
	v_lshlrev_b64 v[22:23], 4, v[25:26]
	v_mad_u64_u32 v[25:26], null, s8, v75, 0
	v_mov_b32_e32 v24, v67
	s_delay_alu instid0(VALU_DEP_1) | instskip(NEXT) | instid1(VALU_DEP_4)
	v_mad_u64_u32 v[72:73], null, s9, v27, v[24:25]
	v_add_co_u32 v73, s0, v20, v22
	s_delay_alu instid0(VALU_DEP_1) | instskip(SKIP_4) | instid1(VALU_DEP_3)
	v_add_co_ci_u32_e64 v74, s0, v21, v23, s0
	v_lshlrev_b64 v[23:24], 4, v[68:69]
	v_mov_b32_e32 v22, v26
	v_mad_u64_u32 v[68:69], null, s8, v77, 0
	v_dual_mov_b32 v67, v72 :: v_dual_add_nc_u32 v72, 0x24c, v227
	v_mad_u64_u32 v[26:27], null, s9, v75, v[22:23]
	v_add_co_u32 v80, s0, v20, v23
	s_delay_alu instid0(VALU_DEP_3) | instskip(SKIP_3) | instid1(VALU_DEP_4)
	v_lshlrev_b64 v[22:23], 4, v[66:67]
	v_add_co_ci_u32_e64 v81, s0, v21, v24, s0
	v_mov_b32_e32 v24, v69
	v_mad_u64_u32 v[66:67], null, s8, v225, 0
	v_add_co_u32 v82, s0, v20, v22
	s_delay_alu instid0(VALU_DEP_3)
	v_mad_u64_u32 v[75:76], null, s9, v77, v[24:25]
	v_add_co_ci_u32_e64 v83, s0, v21, v23, s0
	v_lshlrev_b64 v[22:23], 4, v[25:26]
	v_mad_u64_u32 v[25:26], null, s8, v72, 0
	v_mov_b32_e32 v24, v67
	v_mov_b32_e32 v69, v75
	v_add_nc_u32_e32 v77, 0x3a3, v227
	v_add_co_u32 v96, s0, v20, v22
	s_delay_alu instid0(VALU_DEP_1)
	v_add_co_ci_u32_e64 v97, s0, v21, v23, s0
	v_mad_u64_u32 v[75:76], null, s9, v225, v[24:25]
	v_mov_b32_e32 v24, v26
	v_lshlrev_b64 v[22:23], 4, v[68:69]
	v_mad_u64_u32 v[68:69], null, s8, v77, 0
	v_mov_b32_e32 v225, v230
	s_delay_alu instid0(VALU_DEP_4) | instskip(SKIP_3) | instid1(VALU_DEP_1)
	v_mad_u64_u32 v[26:27], null, s9, v72, v[24:25]
	v_mov_b32_e32 v67, v75
	v_add_nc_u32_e32 v27, 0x4fa, v227
	v_add_co_u32 v196, s0, v20, v22
	v_add_co_ci_u32_e64 v197, s0, v21, v23, s0
	s_delay_alu instid0(VALU_DEP_4) | instskip(NEXT) | instid1(VALU_DEP_4)
	v_lshlrev_b64 v[22:23], 4, v[66:67]
	v_mad_u64_u32 v[66:67], null, s8, v27, 0
	v_mov_b32_e32 v24, v69
	v_add_nc_u32_e32 v72, 0x651, v227
	v_mov_b32_e32 v250, v226
	v_add_co_u32 v198, s0, v20, v22
	s_delay_alu instid0(VALU_DEP_4) | instskip(SKIP_3) | instid1(VALU_DEP_4)
	v_mad_u64_u32 v[75:76], null, s9, v77, v[24:25]
	v_add_co_ci_u32_e64 v199, s0, v21, v23, s0
	v_lshlrev_b64 v[23:24], 4, v[25:26]
	v_dual_mov_b32 v22, v67 :: v_dual_add_nc_u32 v77, 0x7a8, v227
	v_mov_b32_e32 v69, v75
	s_delay_alu instid0(VALU_DEP_2) | instskip(SKIP_2) | instid1(VALU_DEP_1)
	v_mad_u64_u32 v[25:26], null, s9, v27, v[22:23]
	v_mad_u64_u32 v[26:27], null, s8, v72, 0
	v_add_co_u32 v200, s0, v20, v23
	v_add_co_ci_u32_e64 v201, s0, v21, v24, s0
	v_lshlrev_b64 v[22:23], 4, v[68:69]
	s_delay_alu instid0(VALU_DEP_4) | instskip(SKIP_1) | instid1(VALU_DEP_3)
	v_dual_mov_b32 v67, v25 :: v_dual_mov_b32 v24, v27
	v_mad_u64_u32 v[68:69], null, s8, v77, 0
	v_add_co_u32 v202, s0, v20, v22
	s_delay_alu instid0(VALU_DEP_3)
	v_mad_u64_u32 v[75:76], null, s9, v72, v[24:25]
	v_mad_u64_u32 v[24:25], null, s8, v84, 0
	v_add_co_ci_u32_e64 v203, s0, v21, v23, s0
	v_mov_b32_e32 v22, v69
	v_lshlrev_b64 v[66:67], 4, v[66:67]
	v_dual_mov_b32 v27, v75 :: v_dual_add_nc_u32 v72, 0x27d, v227
	v_mov_b32_e32 v23, v25
	s_delay_alu instid0(VALU_DEP_3) | instskip(NEXT) | instid1(VALU_DEP_2)
	v_add_co_u32 v66, s0, v20, v66
	v_mad_u64_u32 v[75:76], null, s9, v77, v[22:23]
	v_mad_u64_u32 v[76:77], null, s8, v224, 0
	;; [unrolled: 1-line block ×3, first 2 shown]
	v_lshlrev_b64 v[22:23], 4, v[26:27]
	v_add_co_ci_u32_e64 v67, s0, v21, v67, s0
	s_delay_alu instid0(VALU_DEP_4) | instskip(SKIP_3) | instid1(VALU_DEP_4)
	v_dual_mov_b32 v69, v75 :: v_dual_mov_b32 v26, v77
	v_add_nc_u32_e32 v75, 0x3d4, v227
	v_mov_b32_e32 v25, v78
	v_add_co_u32 v204, s0, v20, v22
	v_mad_u64_u32 v[77:78], null, s9, v224, v[26:27]
	v_mad_u64_u32 v[26:27], null, s8, v72, 0
	v_add_co_ci_u32_e64 v205, s0, v21, v23, s0
	v_lshlrev_b64 v[22:23], 4, v[68:69]
	v_lshlrev_b64 v[24:25], 4, v[24:25]
	v_mad_u64_u32 v[68:69], null, s8, v75, 0
	v_mad_u64_u32 v[78:79], null, s9, v72, v[27:28]
	s_delay_alu instid0(VALU_DEP_4) | instskip(NEXT) | instid1(VALU_DEP_1)
	v_add_co_u32 v206, s0, v20, v22
	v_add_co_ci_u32_e64 v207, s0, v21, v23, s0
	v_lshlrev_b64 v[22:23], 4, v[76:77]
	v_add_co_u32 v208, s0, v20, v24
	s_delay_alu instid0(VALU_DEP_1) | instskip(SKIP_4) | instid1(VALU_DEP_1)
	v_add_co_ci_u32_e64 v209, s0, v21, v25, s0
	v_mov_b32_e32 v27, v78
	v_mad_u64_u32 v[24:25], null, s9, v75, v[69:70]
	v_add_nc_u32_e32 v72, 0x52b, v227
	v_add_co_u32 v210, s0, v20, v22
	v_add_co_ci_u32_e64 v211, s0, v21, v23, s0
	v_lshlrev_b64 v[22:23], 4, v[26:27]
	s_delay_alu instid0(VALU_DEP_4) | instskip(SKIP_4) | instid1(VALU_DEP_1)
	v_mad_u64_u32 v[75:76], null, s8, v72, 0
	v_mov_b32_e32 v69, v24
	v_add_nc_u32_e32 v79, 0x682, v227
	v_mad_u64_u32 v[84:85], null, s8, v88, 0
	v_add_co_u32 v212, s0, v20, v22
	v_add_co_ci_u32_e64 v213, s0, v21, v23, s0
	v_lshlrev_b64 v[23:24], 4, v[68:69]
	v_mov_b32_e32 v22, v76
	v_mad_u64_u32 v[77:78], null, s8, v79, 0
	s_delay_alu instid0(VALU_DEP_2) | instskip(SKIP_1) | instid1(VALU_DEP_3)
	v_mad_u64_u32 v[26:27], null, s9, v72, v[22:23]
	v_add_nc_u32_e32 v72, 0x930, v227
	v_dual_mov_b32 v22, v85 :: v_dual_mov_b32 v25, v78
	v_add_co_u32 v214, s0, v20, v23
	s_delay_alu instid0(VALU_DEP_3) | instskip(SKIP_1) | instid1(VALU_DEP_4)
	v_mad_u64_u32 v[86:87], null, s8, v72, 0
	v_add_co_ci_u32_e64 v215, s0, v21, v24, s0
	v_mad_u64_u32 v[23:24], null, s9, v88, v[22:23]
	v_mad_u64_u32 v[68:69], null, s9, v79, v[25:26]
	s_delay_alu instid0(VALU_DEP_4)
	v_mov_b32_e32 v22, v87
	v_mov_b32_e32 v76, v26
	s_clause 0x1
	global_load_b128 v[24:27], v[2:3], off
	global_load_b128 v[148:151], v[4:5], off
	v_mov_b32_e32 v85, v23
	v_mad_u64_u32 v[4:5], null, s9, v72, v[22:23]
	v_mov_b32_e32 v78, v68
	v_lshlrev_b64 v[2:3], 4, v[75:76]
	s_delay_alu instid0(VALU_DEP_2) | instskip(NEXT) | instid1(VALU_DEP_4)
	v_lshlrev_b64 v[68:69], 4, v[77:78]
	v_mov_b32_e32 v87, v4
	s_delay_alu instid0(VALU_DEP_3) | instskip(NEXT) | instid1(VALU_DEP_1)
	v_add_co_u32 v216, s0, v20, v2
	v_add_co_ci_u32_e64 v217, s0, v21, v3, s0
	v_lshlrev_b64 v[2:3], 4, v[84:85]
	v_add_co_u32 v218, s0, v20, v68
	v_lshlrev_b64 v[4:5], 4, v[86:87]
	v_add_co_ci_u32_e64 v219, s0, v21, v69, s0
	s_delay_alu instid0(VALU_DEP_4) | instskip(NEXT) | instid1(VALU_DEP_1)
	v_add_co_u32 v220, s0, v20, v2
	v_add_co_ci_u32_e64 v221, s0, v21, v3, s0
	s_delay_alu instid0(VALU_DEP_4) | instskip(NEXT) | instid1(VALU_DEP_1)
	v_add_co_u32 v222, s0, v20, v4
	v_add_co_ci_u32_e64 v223, s0, v21, v5, s0
	s_clause 0x1f
	global_load_b128 v[184:187], v[0:1], off
	global_load_b128 v[176:179], v[6:7], off
	global_load_b128 v[180:183], v[8:9], off
	global_load_b128 v[188:191], v[10:11], off
	global_load_b128 v[192:195], v[12:13], off
	global_load_b128 v[20:23], v[14:15], off
	global_load_b128 v[168:171], v[16:17], off
	global_load_b128 v[160:163], v[18:19], off
	global_load_b128 v[152:155], v[28:29], off
	global_load_b128 v[156:159], v[30:31], off
	global_load_b128 v[164:167], v[32:33], off
	global_load_b128 v[172:175], v[34:35], off
	global_load_b128 v[16:19], v[36:37], off
	global_load_b128 v[140:143], v[38:39], off
	global_load_b128 v[132:135], v[40:41], off
	global_load_b128 v[124:127], v[42:43], off
	global_load_b128 v[128:131], v[44:45], off
	global_load_b128 v[136:139], v[46:47], off
	global_load_b128 v[144:147], v[48:49], off
	global_load_b128 v[12:15], v[50:51], off
	global_load_b128 v[116:119], v[52:53], off
	global_load_b128 v[108:111], v[54:55], off
	global_load_b128 v[100:103], v[56:57], off
	global_load_b128 v[104:107], v[58:59], off
	global_load_b128 v[112:115], v[60:61], off
	global_load_b128 v[120:123], v[62:63], off
	global_load_b128 v[8:11], v[64:65], off
	global_load_b128 v[76:79], v[70:71], off
	global_load_b128 v[92:95], v[73:74], off
	global_load_b128 v[84:87], v[80:81], off
	global_load_b128 v[88:91], v[82:83], off
	global_load_b128 v[96:99], v[96:97], off
	s_clause 0xe
	global_load_b128 v[80:83], v[196:197], off
	global_load_b128 v[4:7], v[198:199], off
	global_load_b128 v[52:55], v[200:201], off
	global_load_b128 v[68:71], v[202:203], off
	global_load_b128 v[60:63], v[66:67], off
	global_load_b128 v[64:67], v[204:205], off
	global_load_b128 v[72:75], v[206:207], off
	global_load_b128 v[56:59], v[208:209], off
	global_load_b128 v[0:3], v[210:211], off
	global_load_b128 v[44:47], v[212:213], off
	global_load_b128 v[36:39], v[214:215], off
	global_load_b128 v[28:31], v[216:217], off
	global_load_b128 v[32:35], v[218:219], off
	global_load_b128 v[40:43], v[220:221], off
	global_load_b128 v[48:51], v[222:223], off
.LBB0_13:
	s_or_b32 exec_lo, exec_lo, s1
	s_waitcnt vmcnt(42)
	v_add_f64 v[200:201], v[192:193], v[148:149]
	v_add_f64 v[232:233], v[150:151], -v[194:195]
	v_add_f64 v[230:231], v[188:189], v[184:185]
	v_add_f64 v[236:237], v[186:187], -v[190:191]
	v_add_f64 v[238:239], v[182:183], -v[178:179]
	v_add_f64 v[198:199], v[194:195], v[150:151]
	v_add_f64 v[192:193], v[148:149], -v[192:193]
	v_add_f64 v[194:195], v[190:191], v[186:187]
	v_mov_b32_e32 v148, v227
	v_add_f64 v[234:235], v[180:181], v[176:177]
	v_add_f64 v[180:181], v[180:181], -v[176:177]
	v_add_f64 v[176:177], v[182:183], v[178:179]
	s_waitcnt vmcnt(35)
	v_add_f64 v[196:197], v[172:173], v[168:169]
	v_add_f64 v[240:241], v[174:175], v[170:171]
	v_add_f64 v[244:245], v[168:169], -v[172:173]
	v_add_f64 v[202:203], v[170:171], -v[174:175]
	v_add_f64 v[204:205], v[164:165], v[160:161]
	v_add_f64 v[246:247], v[166:167], v[162:163]
	v_add_f64 v[150:151], v[160:161], -v[164:165]
	v_add_f64 v[206:207], v[162:163], -v[166:167]
	v_add_f64 v[160:161], v[158:159], v[154:155]
	v_add_f64 v[210:211], v[158:159], -v[154:155]
	s_waitcnt vmcnt(28)
	v_add_f64 v[242:243], v[146:147], v[142:143]
	v_add_f64 v[212:213], v[142:143], -v[146:147]
	v_add_f64 v[216:217], v[136:137], v[132:133]
	v_add_f64 v[142:143], v[138:139], v[134:135]
	v_add_f64 v[132:133], v[132:133], -v[136:137]
	v_add_f64 v[218:219], v[134:135], -v[138:139]
	v_add_f64 v[220:221], v[128:129], v[124:125]
	v_add_f64 v[134:135], v[130:131], v[126:127]
	v_add_f64 v[124:125], v[128:129], -v[124:125]
	v_add_f64 v[222:223], v[130:131], -v[126:127]
	s_waitcnt vmcnt(21)
	v_add_f64 v[226:227], v[120:121], v[116:117]
	v_add_f64 v[126:127], v[122:123], v[118:119]
	v_add_f64 v[116:117], v[116:117], -v[120:121]
	v_add_f64 v[154:155], v[118:119], -v[122:123]
	v_add_f64 v[228:229], v[112:113], v[108:109]
	v_add_f64 v[118:119], v[114:115], v[110:111]
	v_add_f64 v[120:121], v[108:109], -v[112:113]
	v_add_f64 v[108:109], v[110:111], -v[114:115]
	;; [unrolled: 4-line block ×3, first 2 shown]
	s_waitcnt vmcnt(15)
	v_add_f64 v[102:103], v[96:97], v[92:93]
	v_add_f64 v[128:129], v[98:99], v[94:95]
	v_add_f64 v[130:131], v[92:93], -v[96:97]
	v_add_f64 v[92:93], v[94:95], -v[98:99]
	v_add_f64 v[94:95], v[88:89], v[84:85]
	v_add_f64 v[112:113], v[90:91], v[86:87]
	v_add_f64 v[252:253], v[88:89], -v[84:85]
	v_add_f64 v[84:85], v[90:91], -v[86:87]
	s_waitcnt vmcnt(14)
	v_add_f64 v[86:87], v[80:81], v[76:77]
	v_add_f64 v[136:137], v[82:83], v[78:79]
	v_add_f64 v[138:139], v[76:77], -v[80:81]
	v_add_f64 v[76:77], v[78:79], -v[82:83]
	s_waitcnt vmcnt(8)
	v_add_f64 v[78:79], v[72:73], v[68:69]
	v_add_f64 v[158:159], v[74:75], v[70:71]
	v_add_f64 v[162:163], v[68:69], -v[72:73]
	v_add_f64 v[68:69], v[70:71], -v[74:75]
	v_add_f64 v[70:71], v[64:65], v[60:61]
	v_add_f64 v[164:165], v[66:67], v[62:63]
	v_add_f64 v[170:171], v[64:65], -v[60:61]
	v_add_f64 v[60:61], v[66:67], -v[62:63]
	s_waitcnt vmcnt(7)
	v_add_f64 v[62:63], v[56:57], v[52:53]
	v_add_f64 v[166:167], v[58:59], v[54:55]
	v_add_f64 v[172:173], v[52:53], -v[56:57]
	v_add_f64 v[52:53], v[54:55], -v[58:59]
	s_waitcnt vmcnt(0)
	v_add_f64 v[54:55], v[48:49], v[44:45]
	v_add_f64 v[178:179], v[44:45], -v[48:49]
	v_add_f64 v[44:45], v[40:41], v[36:37]
	v_add_f64 v[182:183], v[42:43], v[38:39]
	v_add_f64 v[186:187], v[36:37], -v[40:41]
	v_add_f64 v[38:39], v[38:39], -v[42:43]
	v_add_f64 v[36:37], v[32:33], v[28:29]
	v_add_f64 v[190:191], v[32:33], -v[28:29]
	v_add_f64 v[32:33], v[238:239], -v[236:237]
	;; [unrolled: 1-line block ×3, first 2 shown]
	v_add_f64 v[42:43], v[230:231], v[200:201]
	s_mov_b32 s12, 0xe976ee23
	s_mov_b32 s6, 0x429ad128
	;; [unrolled: 1-line block ×4, first 2 shown]
	v_add_f64 v[184:185], v[184:185], -v[188:189]
	v_add_f64 v[188:189], v[34:35], v[30:31]
	v_add_f64 v[28:29], v[34:35], -v[30:31]
	v_add_f64 v[30:31], v[238:239], v[236:237]
	v_add_f64 v[34:35], v[232:233], -v[238:239]
	v_add_f64 v[48:49], v[200:201], -v[234:235]
	v_add_f64 v[174:175], v[50:51], v[46:47]
	v_add_f64 v[46:47], v[46:47], -v[50:51]
	v_add_f64 v[50:51], v[234:235], -v[230:231]
	s_mov_b32 s2, 0xb247c609
	s_mov_b32 s18, 0x37e14327
	;; [unrolled: 1-line block ×8, first 2 shown]
	v_add_f64 v[56:57], v[230:231], -v[200:201]
	s_mov_b32 s0, 0x37c3f68c
	s_mov_b32 s16, 0xaaaaaaaa
	;; [unrolled: 1-line block ×8, first 2 shown]
	v_add_f64 v[214:215], v[144:145], v[140:141]
	v_add_f64 v[140:141], v[140:141], -v[144:145]
	v_mov_b32_e32 v144, v148
	scratch_store_b32 off, v225, off offset:560 ; 4-byte Folded Spill
	v_add_f64 v[208:209], v[156:157], v[152:153]
	v_mul_f64 v[32:33], v[32:33], s[12:13]
	v_mul_f64 v[58:59], v[40:41], s[6:7]
	v_add_f64 v[42:43], v[234:235], v[42:43]
	v_lshl_add_u32 v254, v144, 3, 0
	v_add_f64 v[152:153], v[156:157], -v[152:153]
	s_delay_alu instid0(VALU_DEP_2)
	v_add_nc_u32_e32 v255, 0x2000, v254
	v_mad_u32_u24 v149, v144, 56, 0
	v_add_f64 v[30:31], v[30:31], v[232:233]
	v_mov_b32_e32 v232, v224
	v_mul_f64 v[48:49], v[48:49], s[18:19]
	v_add_nc_u32_e32 v233, 0x1000, v254
	v_fma_f64 v[40:41], v[40:41], s[6:7], -v[32:33]
	v_fma_f64 v[32:33], v[34:35], s[2:3], v[32:33]
	v_fma_f64 v[34:35], v[34:35], s[14:15], -v[58:59]
	v_add_f64 v[24:25], v[24:25], v[42:43]
	v_mul_f64 v[58:59], v[50:51], s[22:23]
	v_fma_f64 v[50:51], v[50:51], s[22:23], v[48:49]
	v_fma_f64 v[48:49], v[56:57], s[24:25], -v[48:49]
	v_fma_f64 v[40:41], v[30:31], s[0:1], v[40:41]
	v_fma_f64 v[32:33], v[30:31], s[0:1], v[32:33]
	;; [unrolled: 1-line block ×4, first 2 shown]
	v_fma_f64 v[56:57], v[56:57], s[20:21], -v[58:59]
	s_delay_alu instid0(VALU_DEP_2) | instskip(SKIP_1) | instid1(VALU_DEP_3)
	v_add_f64 v[42:43], v[50:51], v[34:35]
	v_add_f64 v[48:49], v[48:49], v[34:35]
	;; [unrolled: 1-line block ×3, first 2 shown]
	s_delay_alu instid0(VALU_DEP_3) | instskip(NEXT) | instid1(VALU_DEP_3)
	v_add_f64 v[50:51], v[32:33], v[42:43]
	v_add_f64 v[56:57], v[30:31], v[48:49]
	s_delay_alu instid0(VALU_DEP_3)
	v_add_f64 v[58:59], v[34:35], -v[40:41]
	ds_store_2addr_b64 v149, v[24:25], v[50:51] offset1:1
	ds_store_2addr_b64 v149, v[56:57], v[58:59] offset0:2 offset1:3
	v_add_f64 v[24:25], v[40:41], v[34:35]
	v_add_f64 v[30:31], v[48:49], -v[30:31]
	v_add_f64 v[32:33], v[42:43], -v[32:33]
	;; [unrolled: 1-line block ×6, first 2 shown]
	v_add_f64 v[42:43], v[210:211], v[206:207]
	v_add_f64 v[34:35], v[204:205], -v[196:197]
	ds_store_2addr_b64 v149, v[24:25], v[30:31] offset0:4 offset1:5
	ds_store_b64 v149, v[32:33] offset:48
	v_add_f64 v[24:25], v[204:205], v[196:197]
	v_add_f64 v[30:31], v[196:197], -v[208:209]
	v_mul_f64 v[48:49], v[48:49], s[12:13]
	v_mul_f64 v[58:59], v[50:51], s[6:7]
	v_add_f64 v[42:43], v[42:43], v[202:203]
	v_mad_i32_i24 v196, v225, 56, 0
	v_mad_i32_i24 v197, v248, 56, 0
	v_add_f64 v[24:25], v[208:209], v[24:25]
	v_mul_f64 v[30:31], v[30:31], s[18:19]
	v_fma_f64 v[50:51], v[50:51], s[6:7], -v[48:49]
	v_fma_f64 v[48:49], v[56:57], s[2:3], v[48:49]
	v_fma_f64 v[56:57], v[56:57], s[14:15], -v[58:59]
	v_mul_f64 v[58:59], v[40:41], s[22:23]
	v_add_nc_u32_e32 v209, 0x3000, v254
	v_mad_i32_i24 v202, v232, 56, 0
	v_add_f64 v[20:21], v[20:21], v[24:25]
	v_fma_f64 v[40:41], v[40:41], s[22:23], v[30:31]
	v_fma_f64 v[30:31], v[34:35], s[24:25], -v[30:31]
	v_fma_f64 v[48:49], v[42:43], s[0:1], v[48:49]
	v_fma_f64 v[50:51], v[42:43], s[0:1], v[50:51]
	v_fma_f64 v[34:35], v[34:35], s[20:21], -v[58:59]
	v_fma_f64 v[42:43], v[42:43], s[0:1], v[56:57]
	v_fma_f64 v[24:25], v[24:25], s[16:17], v[20:21]
	s_delay_alu instid0(VALU_DEP_1) | instskip(SKIP_2) | instid1(VALU_DEP_3)
	v_add_f64 v[40:41], v[40:41], v[24:25]
	v_add_f64 v[30:31], v[30:31], v[24:25]
	;; [unrolled: 1-line block ×4, first 2 shown]
	s_delay_alu instid0(VALU_DEP_3) | instskip(NEXT) | instid1(VALU_DEP_3)
	v_add_f64 v[34:35], v[42:43], v[30:31]
	v_add_f64 v[56:57], v[24:25], -v[50:51]
	ds_store_2addr_b64 v196, v[20:21], v[32:33] offset1:1
	ds_store_2addr_b64 v196, v[34:35], v[56:57] offset0:2 offset1:3
	v_add_f64 v[20:21], v[50:51], v[24:25]
	v_add_f64 v[24:25], v[30:31], -v[42:43]
	v_add_f64 v[30:31], v[40:41], -v[48:49]
	;; [unrolled: 1-line block ×6, first 2 shown]
	v_add_f64 v[40:41], v[222:223], v[218:219]
	v_add_f64 v[32:33], v[216:217], -v[214:215]
	ds_store_2addr_b64 v196, v[20:21], v[24:25] offset0:4 offset1:5
	ds_store_b64 v196, v[30:31] offset:48
	v_add_f64 v[20:21], v[216:217], v[214:215]
	v_add_f64 v[24:25], v[214:215], -v[220:221]
	v_mul_f64 v[42:43], v[42:43], s[12:13]
	v_mul_f64 v[56:57], v[48:49], s[6:7]
	v_add_f64 v[40:41], v[40:41], v[212:213]
	v_add_f64 v[20:21], v[220:221], v[20:21]
	v_mul_f64 v[24:25], v[24:25], s[18:19]
	v_fma_f64 v[48:49], v[48:49], s[6:7], -v[42:43]
	v_fma_f64 v[42:43], v[50:51], s[2:3], v[42:43]
	v_fma_f64 v[50:51], v[50:51], s[14:15], -v[56:57]
	v_mul_f64 v[56:57], v[34:35], s[22:23]
	v_add_f64 v[16:17], v[16:17], v[20:21]
	v_fma_f64 v[34:35], v[34:35], s[22:23], v[24:25]
	v_fma_f64 v[24:25], v[32:33], s[24:25], -v[24:25]
	s_delay_alu instid0(VALU_DEP_4) | instskip(SKIP_4) | instid1(VALU_DEP_1)
	v_fma_f64 v[56:57], v[32:33], s[20:21], -v[56:57]
	v_fma_f64 v[32:33], v[40:41], s[0:1], v[42:43]
	v_fma_f64 v[42:43], v[40:41], s[0:1], v[48:49]
	;; [unrolled: 1-line block ×4, first 2 shown]
	v_add_f64 v[34:35], v[34:35], v[20:21]
	v_add_f64 v[48:49], v[56:57], v[20:21]
	;; [unrolled: 1-line block ×3, first 2 shown]
	s_delay_alu instid0(VALU_DEP_3) | instskip(NEXT) | instid1(VALU_DEP_3)
	v_add_f64 v[24:25], v[32:33], v[34:35]
	v_add_f64 v[30:31], v[48:49], -v[42:43]
	s_delay_alu instid0(VALU_DEP_3)
	v_add_f64 v[50:51], v[40:41], v[20:21]
	ds_store_2addr_b64 v197, v[16:17], v[24:25] offset1:1
	ds_store_2addr_b64 v197, v[50:51], v[30:31] offset0:2 offset1:3
	v_add_f64 v[16:17], v[42:43], v[48:49]
	v_add_f64 v[20:21], v[20:21], -v[40:41]
	v_add_f64 v[24:25], v[34:35], -v[32:33]
	;; [unrolled: 1-line block ×6, first 2 shown]
	v_add_f64 v[34:35], v[100:101], v[108:109]
	v_add_f64 v[30:31], v[228:229], -v[226:227]
	v_mad_i32_i24 v108, v249, 56, 0
	ds_store_2addr_b64 v197, v[16:17], v[20:21] offset0:4 offset1:5
	ds_store_b64 v197, v[24:25] offset:48
	v_add_f64 v[16:17], v[228:229], v[226:227]
	v_add_f64 v[20:21], v[226:227], -v[110:111]
	v_mul_f64 v[40:41], v[40:41], s[12:13]
	v_mul_f64 v[50:51], v[42:43], s[6:7]
	v_add_f64 v[34:35], v[34:35], v[154:155]
	v_add_f64 v[16:17], v[110:111], v[16:17]
	v_mul_f64 v[20:21], v[20:21], s[18:19]
	v_fma_f64 v[42:43], v[42:43], s[6:7], -v[40:41]
	v_fma_f64 v[40:41], v[48:49], s[2:3], v[40:41]
	v_fma_f64 v[48:49], v[48:49], s[14:15], -v[50:51]
	v_mul_f64 v[50:51], v[32:33], s[22:23]
	v_add_f64 v[12:13], v[12:13], v[16:17]
	v_fma_f64 v[32:33], v[32:33], s[22:23], v[20:21]
	v_fma_f64 v[20:21], v[30:31], s[24:25], -v[20:21]
	v_fma_f64 v[40:41], v[34:35], s[0:1], v[40:41]
	v_fma_f64 v[42:43], v[34:35], s[0:1], v[42:43]
	v_fma_f64 v[30:31], v[30:31], s[20:21], -v[50:51]
	v_fma_f64 v[34:35], v[34:35], s[0:1], v[48:49]
	v_fma_f64 v[16:17], v[16:17], s[16:17], v[12:13]
	s_delay_alu instid0(VALU_DEP_1) | instskip(SKIP_2) | instid1(VALU_DEP_3)
	v_add_f64 v[32:33], v[32:33], v[16:17]
	v_add_f64 v[20:21], v[20:21], v[16:17]
	;; [unrolled: 1-line block ×4, first 2 shown]
	s_delay_alu instid0(VALU_DEP_3) | instskip(NEXT) | instid1(VALU_DEP_3)
	v_add_f64 v[30:31], v[34:35], v[20:21]
	v_add_f64 v[48:49], v[16:17], -v[42:43]
	ds_store_2addr_b64 v108, v[12:13], v[24:25] offset1:1
	ds_store_2addr_b64 v108, v[30:31], v[48:49] offset0:2 offset1:3
	v_add_f64 v[12:13], v[42:43], v[16:17]
	v_add_f64 v[16:17], v[20:21], -v[34:35]
	v_add_f64 v[20:21], v[32:33], -v[40:41]
	;; [unrolled: 1-line block ×7, first 2 shown]
	v_add_f64 v[32:33], v[84:85], v[92:93]
	ds_store_2addr_b64 v108, v[12:13], v[16:17] offset0:4 offset1:5
	ds_store_b64 v108, v[20:21] offset:48
	v_add_f64 v[16:17], v[86:87], -v[94:95]
	v_add_f64 v[12:13], v[102:103], v[86:87]
	v_mul_f64 v[48:49], v[30:31], s[22:23]
	v_add_f64 v[32:33], v[32:33], v[76:77]
	s_delay_alu instid0(VALU_DEP_4) | instskip(NEXT) | instid1(VALU_DEP_4)
	v_mul_f64 v[16:17], v[16:17], s[18:19]
	v_add_f64 v[12:13], v[94:95], v[12:13]
	s_delay_alu instid0(VALU_DEP_4) | instskip(NEXT) | instid1(VALU_DEP_3)
	v_fma_f64 v[48:49], v[24:25], s[20:21], -v[48:49]
	v_fma_f64 v[30:31], v[30:31], s[22:23], v[16:17]
	v_fma_f64 v[16:17], v[24:25], s[24:25], -v[16:17]
	v_mul_f64 v[24:25], v[34:35], s[12:13]
	v_mul_f64 v[34:35], v[42:43], s[6:7]
	s_delay_alu instid0(VALU_DEP_1) | instskip(NEXT) | instid1(VALU_DEP_3)
	v_fma_f64 v[34:35], v[40:41], s[14:15], -v[34:35]
	v_fma_f64 v[40:41], v[40:41], s[2:3], v[24:25]
	v_fma_f64 v[24:25], v[42:43], s[6:7], -v[24:25]
	v_add_f64 v[42:43], v[8:9], v[12:13]
	s_delay_alu instid0(VALU_DEP_4) | instskip(NEXT) | instid1(VALU_DEP_4)
	v_fma_f64 v[34:35], v[32:33], s[0:1], v[34:35]
	v_fma_f64 v[40:41], v[32:33], s[0:1], v[40:41]
	s_delay_alu instid0(VALU_DEP_4) | instskip(NEXT) | instid1(VALU_DEP_4)
	v_fma_f64 v[24:25], v[32:33], s[0:1], v[24:25]
	v_fma_f64 v[8:9], v[12:13], s[16:17], v[42:43]
	s_delay_alu instid0(VALU_DEP_1) | instskip(SKIP_4) | instid1(VALU_DEP_1)
	v_add_f64 v[12:13], v[30:31], v[8:9]
	v_add_f64 v[30:31], v[48:49], v[8:9]
	;; [unrolled: 1-line block ×3, first 2 shown]
	v_mad_i32_i24 v8, v250, 56, 0
	v_add_nc_u32_e32 v9, 0x1400, v254
	v_dual_mov_b32 v206, v9 :: v_dual_add_nc_u32 v215, 0x3c00, v254
	v_add_nc_u32_e32 v211, 0x4000, v254
	v_add_f64 v[20:21], v[40:41], v[12:13]
	v_add_f64 v[48:49], v[30:31], -v[24:25]
	v_add_f64 v[32:33], v[34:35], v[16:17]
	ds_store_2addr_b64 v8, v[42:43], v[20:21] offset1:1
	ds_store_2addr_b64 v8, v[32:33], v[48:49] offset0:2 offset1:3
	v_add_f64 v[20:21], v[24:25], v[30:31]
	v_add_f64 v[16:17], v[16:17], -v[34:35]
	v_add_f64 v[12:13], v[12:13], -v[40:41]
	;; [unrolled: 1-line block ×7, first 2 shown]
	v_add_f64 v[32:33], v[60:61], v[68:69]
	ds_store_2addr_b64 v8, v[20:21], v[16:17] offset0:4 offset1:5
	ds_store_b64 v8, v[12:13] offset:48
	v_add_f64 v[20:21], v[62:63], -v[70:71]
	v_add_f64 v[16:17], v[78:79], v[62:63]
	v_mul_f64 v[48:49], v[24:25], s[22:23]
	v_add_f64 v[32:33], v[32:33], v[52:53]
	s_delay_alu instid0(VALU_DEP_4) | instskip(NEXT) | instid1(VALU_DEP_4)
	v_mul_f64 v[20:21], v[20:21], s[18:19]
	v_add_f64 v[16:17], v[70:71], v[16:17]
	s_delay_alu instid0(VALU_DEP_4) | instskip(NEXT) | instid1(VALU_DEP_3)
	v_fma_f64 v[48:49], v[30:31], s[20:21], -v[48:49]
	v_fma_f64 v[24:25], v[24:25], s[22:23], v[20:21]
	v_fma_f64 v[20:21], v[30:31], s[24:25], -v[20:21]
	v_mul_f64 v[30:31], v[34:35], s[12:13]
	v_mul_f64 v[34:35], v[42:43], s[6:7]
	s_delay_alu instid0(VALU_DEP_1) | instskip(NEXT) | instid1(VALU_DEP_3)
	v_fma_f64 v[34:35], v[40:41], s[14:15], -v[34:35]
	v_fma_f64 v[40:41], v[40:41], s[2:3], v[30:31]
	v_fma_f64 v[30:31], v[42:43], s[6:7], -v[30:31]
	v_add_f64 v[42:43], v[4:5], v[16:17]
	s_delay_alu instid0(VALU_DEP_4) | instskip(NEXT) | instid1(VALU_DEP_4)
	v_fma_f64 v[34:35], v[32:33], s[0:1], v[34:35]
	v_fma_f64 v[40:41], v[32:33], s[0:1], v[40:41]
	s_delay_alu instid0(VALU_DEP_4) | instskip(NEXT) | instid1(VALU_DEP_4)
	v_fma_f64 v[30:31], v[32:33], s[0:1], v[30:31]
	v_fma_f64 v[4:5], v[16:17], s[16:17], v[42:43]
	s_delay_alu instid0(VALU_DEP_1) | instskip(SKIP_3) | instid1(VALU_DEP_4)
	v_add_f64 v[16:17], v[24:25], v[4:5]
	v_add_f64 v[24:25], v[48:49], v[4:5]
	;; [unrolled: 1-line block ×3, first 2 shown]
	v_mad_i32_i24 v4, v251, 56, 0
	v_add_f64 v[12:13], v[40:41], v[16:17]
	s_delay_alu instid0(VALU_DEP_4) | instskip(NEXT) | instid1(VALU_DEP_4)
	v_add_f64 v[48:49], v[24:25], -v[30:31]
	v_add_f64 v[32:33], v[34:35], v[20:21]
	ds_store_2addr_b64 v4, v[42:43], v[12:13] offset1:1
	ds_store_2addr_b64 v4, v[32:33], v[48:49] offset0:2 offset1:3
	v_add_f64 v[12:13], v[30:31], v[24:25]
	v_add_f64 v[20:21], v[20:21], -v[34:35]
	v_add_f64 v[30:31], v[44:45], v[54:55]
	v_add_f64 v[32:33], v[54:55], -v[36:37]
	v_add_f64 v[34:35], v[36:37], -v[44:45]
	v_add_f64 v[16:17], v[16:17], -v[40:41]
	v_add_f64 v[24:25], v[46:47], -v[28:29]
	ds_store_2addr_b64 v4, v[12:13], v[20:21] offset0:4 offset1:5
	v_add_f64 v[12:13], v[28:29], v[38:39]
	v_add_f64 v[20:21], v[28:29], -v[38:39]
	v_add_f64 v[28:29], v[38:39], -v[46:47]
	ds_store_b64 v4, v[16:17] offset:48
	v_add_f64 v[30:31], v[36:37], v[30:31]
	v_add_f64 v[36:37], v[44:45], -v[54:55]
	v_mul_f64 v[32:33], v[32:33], s[18:19]
	v_mul_f64 v[38:39], v[34:35], s[22:23]
	v_add_f64 v[12:13], v[12:13], v[46:47]
	v_mul_f64 v[20:21], v[20:21], s[12:13]
	v_add_f64 v[0:1], v[0:1], v[30:31]
	v_fma_f64 v[34:35], v[34:35], s[22:23], v[32:33]
	v_fma_f64 v[38:39], v[36:37], s[20:21], -v[38:39]
	v_fma_f64 v[32:33], v[36:37], s[24:25], -v[32:33]
	v_mul_f64 v[36:37], v[28:29], s[6:7]
	s_delay_alu instid0(VALU_DEP_1) | instskip(SKIP_3) | instid1(VALU_DEP_3)
	v_fma_f64 v[36:37], v[24:25], s[14:15], -v[36:37]
	v_fma_f64 v[24:25], v[24:25], s[2:3], v[20:21]
	v_fma_f64 v[20:21], v[28:29], s[6:7], -v[20:21]
	v_fma_f64 v[28:29], v[30:31], s[16:17], v[0:1]
	v_fma_f64 v[24:25], v[12:13], s[0:1], v[24:25]
	s_delay_alu instid0(VALU_DEP_2)
	v_add_f64 v[30:31], v[34:35], v[28:29]
	v_add_f64 v[34:35], v[38:39], v[28:29]
	v_add_f64 v[28:29], v[32:33], v[28:29]
	v_fma_f64 v[32:33], v[12:13], s[0:1], v[36:37]
	v_fma_f64 v[12:13], v[12:13], s[0:1], v[20:21]
	v_add_f64 v[16:17], v[24:25], v[30:31]
	s_delay_alu instid0(VALU_DEP_3) | instskip(NEXT) | instid1(VALU_DEP_3)
	v_add_f64 v[20:21], v[32:33], v[28:29]
	v_add_f64 v[36:37], v[34:35], -v[12:13]
	ds_store_2addr_b64 v202, v[0:1], v[16:17] offset1:1
	ds_store_2addr_b64 v202, v[20:21], v[36:37] offset0:2 offset1:3
	v_add_f64 v[0:1], v[12:13], v[34:35]
	v_add_f64 v[12:13], v[28:29], -v[32:33]
	v_add_f64 v[16:17], v[30:31], -v[24:25]
	;; [unrolled: 1-line block ×6, first 2 shown]
	ds_store_2addr_b64 v202, v[0:1], v[12:13] offset0:4 offset1:5
	ds_store_b64 v202, v[16:17] offset:48
	v_add_f64 v[0:1], v[194:195], v[198:199]
	v_add_f64 v[16:17], v[180:181], -v[184:185]
	v_mul_f64 v[32:33], v[20:21], s[6:7]
	v_add_f64 v[12:13], v[180:181], v[184:185]
	s_waitcnt lgkmcnt(0)
	s_waitcnt_vscnt null, 0x0
	s_barrier
	buffer_gl0_inv
	v_add_f64 v[0:1], v[176:177], v[0:1]
	v_mul_f64 v[16:17], v[16:17], s[12:13]
	v_add_f64 v[12:13], v[12:13], v[192:193]
	s_delay_alu instid0(VALU_DEP_3) | instskip(SKIP_1) | instid1(VALU_DEP_4)
	v_add_f64 v[109:110], v[26:27], v[0:1]
	v_add_f64 v[26:27], v[198:199], -v[176:177]
	v_fma_f64 v[20:21], v[20:21], s[6:7], -v[16:17]
	v_fma_f64 v[16:17], v[24:25], s[2:3], v[16:17]
	v_fma_f64 v[24:25], v[24:25], s[14:15], -v[32:33]
	v_mul_f64 v[32:33], v[28:29], s[22:23]
	v_fma_f64 v[0:1], v[0:1], s[16:17], v[109:110]
	v_mul_f64 v[26:27], v[26:27], s[18:19]
	v_fma_f64 v[168:169], v[12:13], s[0:1], v[20:21]
	v_fma_f64 v[156:157], v[12:13], s[0:1], v[16:17]
	;; [unrolled: 1-line block ×3, first 2 shown]
	v_lshl_add_u32 v12, v225, 3, 0
	v_lshl_add_u32 v20, v248, 3, 0
	;; [unrolled: 1-line block ×5, first 2 shown]
	scratch_store_b32 off, v12, off         ; 4-byte Folded Spill
	ds_load_b64 v[222:223], v254
	ds_load_b64 v[12:13], v12
	;; [unrolled: 1-line block ×6, first 2 shown]
	v_fma_f64 v[28:29], v[28:29], s[22:23], v[26:27]
	v_fma_f64 v[26:27], v[30:31], s[24:25], -v[26:27]
	v_fma_f64 v[30:31], v[30:31], s[20:21], -v[32:33]
	s_delay_alu instid0(VALU_DEP_3) | instskip(NEXT) | instid1(VALU_DEP_3)
	v_add_f64 v[184:185], v[28:29], v[0:1]
	v_add_f64 v[192:193], v[26:27], v[0:1]
	s_delay_alu instid0(VALU_DEP_3)
	v_add_f64 v[0:1], v[30:31], v[0:1]
	v_mad_i32_i24 v26, 0xffffffd0, v232, v202
	v_add_nc_u32_e32 v208, 0x800, v254
	v_add_nc_u32_e32 v28, 0x2c00, v254
	;; [unrolled: 1-line block ×3, first 2 shown]
	ds_load_b64 v[24:25], v26
	v_mov_b32_e32 v145, v26
	v_mov_b32_e32 v203, v28
	v_add_nc_u32_e32 v5, 0x4400, v254
	v_add_nc_u32_e32 v228, 0x3800, v254
	s_waitcnt lgkmcnt(1)
	scratch_store_b64 off, v[16:17], off offset:80 ; 8-byte Folded Spill
	v_dual_mov_b32 v217, v5 :: v_dual_add_nc_u32 v230, 0x1800, v254
	s_waitcnt lgkmcnt(0)
	scratch_store_b64 off, v[24:25], off offset:72 ; 8-byte Folded Spill
	ds_load_2addr_b64 v[104:107], v208 offset0:87 offset1:136
	ds_load_2addr_b64 v[40:43], v233 offset0:125 offset1:174
	;; [unrolled: 1-line block ×21, first 2 shown]
	s_waitcnt lgkmcnt(0)
	s_waitcnt_vscnt null, 0x0
	s_barrier
	buffer_gl0_inv
	v_add_f64 v[194:195], v[184:185], -v[156:157]
	v_add_f64 v[198:199], v[192:193], -v[180:181]
	v_add_f64 v[200:201], v[168:169], v[0:1]
	ds_store_2addr_b64 v149, v[109:110], v[194:195] offset1:1
	ds_store_2addr_b64 v149, v[198:199], v[200:201] offset0:2 offset1:3
	v_add_f64 v[0:1], v[0:1], -v[168:169]
	v_add_f64 v[109:110], v[180:181], v[192:193]
	v_add_f64 v[156:157], v[156:157], v[184:185]
	ds_store_2addr_b64 v149, v[0:1], v[109:110] offset0:4 offset1:5
	ds_store_b64 v149, v[156:157] offset:48
	v_add_f64 v[0:1], v[246:247], v[240:241]
	v_add_f64 v[109:110], v[152:153], v[150:151]
	v_add_f64 v[148:149], v[152:153], -v[150:151]
	v_add_f64 v[150:151], v[150:151], -v[244:245]
	v_add_f64 v[152:153], v[244:245], -v[152:153]
	v_add_f64 v[156:157], v[240:241], -v[160:161]
	v_add_f64 v[168:169], v[246:247], -v[240:241]
	v_add_f64 v[0:1], v[160:161], v[0:1]
	v_add_f64 v[160:161], v[160:161], -v[246:247]
	v_mul_f64 v[148:149], v[148:149], s[12:13]
	v_mul_f64 v[180:181], v[150:151], s[6:7]
	v_add_f64 v[109:110], v[109:110], v[244:245]
	v_add_f64 v[22:23], v[22:23], v[0:1]
	s_delay_alu instid0(VALU_DEP_3)
	v_fma_f64 v[180:181], v[152:153], s[14:15], -v[180:181]
	v_fma_f64 v[152:153], v[152:153], s[2:3], v[148:149]
	v_fma_f64 v[148:149], v[150:151], s[6:7], -v[148:149]
	v_mul_f64 v[150:151], v[156:157], s[18:19]
	v_mul_f64 v[156:157], v[160:161], s[22:23]
	v_fma_f64 v[0:1], v[0:1], s[16:17], v[22:23]
	v_fma_f64 v[152:153], v[109:110], s[0:1], v[152:153]
	s_delay_alu instid0(VALU_DEP_4)
	v_fma_f64 v[160:161], v[160:161], s[22:23], v[150:151]
	v_fma_f64 v[150:151], v[168:169], s[24:25], -v[150:151]
	v_fma_f64 v[156:157], v[168:169], s[20:21], -v[156:157]
	v_fma_f64 v[168:169], v[109:110], s[0:1], v[180:181]
	v_fma_f64 v[109:110], v[109:110], s[0:1], v[148:149]
	v_add_f64 v[148:149], v[160:161], v[0:1]
	v_add_f64 v[150:151], v[150:151], v[0:1]
	;; [unrolled: 1-line block ×3, first 2 shown]
	s_delay_alu instid0(VALU_DEP_3) | instskip(NEXT) | instid1(VALU_DEP_3)
	v_add_f64 v[156:157], v[148:149], -v[152:153]
	v_add_f64 v[160:161], v[150:151], -v[168:169]
	s_delay_alu instid0(VALU_DEP_3)
	v_add_f64 v[180:181], v[109:110], v[0:1]
	ds_store_2addr_b64 v196, v[22:23], v[156:157] offset1:1
	ds_store_2addr_b64 v196, v[160:161], v[180:181] offset0:2 offset1:3
	v_add_f64 v[0:1], v[0:1], -v[109:110]
	v_add_f64 v[22:23], v[168:169], v[150:151]
	v_add_f64 v[109:110], v[152:153], v[148:149]
	ds_store_2addr_b64 v196, v[0:1], v[22:23] offset0:4 offset1:5
	ds_store_b64 v196, v[109:110] offset:48
	v_add_f64 v[0:1], v[142:143], v[242:243]
	v_add_f64 v[22:23], v[134:135], -v[142:143]
	v_add_f64 v[109:110], v[242:243], -v[134:135]
	;; [unrolled: 1-line block ×3, first 2 shown]
	s_delay_alu instid0(VALU_DEP_4)
	v_add_f64 v[0:1], v[134:135], v[0:1]
	v_add_f64 v[134:135], v[142:143], -v[242:243]
	v_add_f64 v[142:143], v[124:125], v[132:133]
	v_add_f64 v[124:125], v[140:141], -v[124:125]
	v_add_f64 v[132:133], v[132:133], -v[140:141]
	v_mul_f64 v[109:110], v[109:110], s[18:19]
	v_add_f64 v[18:19], v[18:19], v[0:1]
	v_add_f64 v[142:143], v[142:143], v[140:141]
	v_mul_f64 v[140:141], v[22:23], s[22:23]
	s_delay_alu instid0(VALU_DEP_4) | instskip(SKIP_2) | instid1(VALU_DEP_4)
	v_fma_f64 v[22:23], v[22:23], s[22:23], v[109:110]
	v_fma_f64 v[109:110], v[134:135], s[24:25], -v[109:110]
	v_fma_f64 v[0:1], v[0:1], s[16:17], v[18:19]
	v_fma_f64 v[140:141], v[134:135], s[20:21], -v[140:141]
	v_mul_f64 v[134:135], v[148:149], s[12:13]
	v_mul_f64 v[148:149], v[132:133], s[6:7]
	s_delay_alu instid0(VALU_DEP_4) | instskip(NEXT) | instid1(VALU_DEP_4)
	v_add_f64 v[22:23], v[22:23], v[0:1]
	v_add_f64 v[140:141], v[140:141], v[0:1]
	s_delay_alu instid0(VALU_DEP_4) | instskip(SKIP_3) | instid1(VALU_DEP_4)
	v_fma_f64 v[132:133], v[132:133], s[6:7], -v[134:135]
	v_fma_f64 v[134:135], v[124:125], s[2:3], v[134:135]
	v_fma_f64 v[124:125], v[124:125], s[14:15], -v[148:149]
	v_add_f64 v[0:1], v[109:110], v[0:1]
	v_fma_f64 v[132:133], v[142:143], s[0:1], v[132:133]
	s_delay_alu instid0(VALU_DEP_4) | instskip(NEXT) | instid1(VALU_DEP_4)
	v_fma_f64 v[109:110], v[142:143], s[0:1], v[134:135]
	v_fma_f64 v[124:125], v[142:143], s[0:1], v[124:125]
	s_delay_alu instid0(VALU_DEP_3) | instskip(NEXT) | instid1(VALU_DEP_3)
	v_add_f64 v[142:143], v[132:133], v[140:141]
	v_add_f64 v[134:135], v[22:23], -v[109:110]
	s_delay_alu instid0(VALU_DEP_3)
	v_add_f64 v[148:149], v[0:1], -v[124:125]
	ds_store_2addr_b64 v197, v[18:19], v[134:135] offset1:1
	ds_store_2addr_b64 v197, v[148:149], v[142:143] offset0:2 offset1:3
	v_add_f64 v[18:19], v[140:141], -v[132:133]
	v_add_f64 v[0:1], v[124:125], v[0:1]
	v_add_f64 v[22:23], v[109:110], v[22:23]
	ds_store_2addr_b64 v197, v[18:19], v[0:1] offset0:4 offset1:5
	ds_store_b64 v197, v[22:23] offset:48
	v_add_f64 v[0:1], v[118:119], v[126:127]
	v_add_f64 v[18:19], v[122:123], v[120:121]
	v_add_f64 v[22:23], v[122:123], -v[120:121]
	v_add_f64 v[109:110], v[116:117], -v[122:123]
	v_mov_b32_e32 v148, v206
	v_add_f64 v[0:1], v[114:115], v[0:1]
	v_add_f64 v[18:19], v[18:19], v[116:117]
	v_add_f64 v[116:117], v[120:121], -v[116:117]
	v_add_f64 v[120:121], v[126:127], -v[114:115]
	;; [unrolled: 1-line block ×4, first 2 shown]
	v_mul_f64 v[22:23], v[22:23], s[12:13]
	v_add_f64 v[14:15], v[14:15], v[0:1]
	v_mul_f64 v[120:121], v[120:121], s[18:19]
	v_mul_f64 v[122:123], v[114:115], s[22:23]
	s_delay_alu instid0(VALU_DEP_3) | instskip(NEXT) | instid1(VALU_DEP_3)
	v_fma_f64 v[0:1], v[0:1], s[16:17], v[14:15]
	v_fma_f64 v[114:115], v[114:115], s[22:23], v[120:121]
	s_delay_alu instid0(VALU_DEP_3) | instskip(SKIP_2) | instid1(VALU_DEP_4)
	v_fma_f64 v[122:123], v[118:119], s[20:21], -v[122:123]
	v_fma_f64 v[118:119], v[118:119], s[24:25], -v[120:121]
	v_mul_f64 v[120:121], v[116:117], s[6:7]
	v_add_f64 v[114:115], v[114:115], v[0:1]
	s_delay_alu instid0(VALU_DEP_2)
	v_fma_f64 v[120:121], v[109:110], s[14:15], -v[120:121]
	v_fma_f64 v[109:110], v[109:110], s[2:3], v[22:23]
	v_fma_f64 v[22:23], v[116:117], s[6:7], -v[22:23]
	v_add_f64 v[116:117], v[122:123], v[0:1]
	v_add_f64 v[0:1], v[118:119], v[0:1]
	v_fma_f64 v[118:119], v[18:19], s[0:1], v[120:121]
	v_fma_f64 v[109:110], v[18:19], s[0:1], v[109:110]
	;; [unrolled: 1-line block ×3, first 2 shown]
	s_delay_alu instid0(VALU_DEP_3) | instskip(NEXT) | instid1(VALU_DEP_3)
	v_add_f64 v[120:121], v[0:1], -v[118:119]
	v_add_f64 v[22:23], v[114:115], -v[109:110]
	s_delay_alu instid0(VALU_DEP_3)
	v_add_f64 v[122:123], v[18:19], v[116:117]
	ds_store_2addr_b64 v108, v[14:15], v[22:23] offset1:1
	ds_store_2addr_b64 v108, v[120:121], v[122:123] offset0:2 offset1:3
	v_add_f64 v[14:15], v[116:117], -v[18:19]
	v_add_f64 v[0:1], v[118:119], v[0:1]
	v_add_f64 v[18:19], v[109:110], v[114:115]
	ds_store_2addr_b64 v108, v[14:15], v[0:1] offset0:4 offset1:5
	ds_store_b64 v108, v[18:19] offset:48
	v_add_f64 v[0:1], v[128:129], v[136:137]
	v_add_f64 v[110:111], v[136:137], -v[112:113]
	v_add_f64 v[114:115], v[112:113], -v[128:129]
	;; [unrolled: 1-line block ×5, first 2 shown]
	v_add_f64 v[14:15], v[252:253], v[130:131]
	v_add_f64 v[22:23], v[138:139], -v[252:253]
	v_add_f64 v[0:1], v[112:113], v[0:1]
	v_mul_f64 v[110:111], v[110:111], s[18:19]
	v_mul_f64 v[118:119], v[114:115], s[22:23]
	;; [unrolled: 1-line block ×3, first 2 shown]
	v_add_f64 v[14:15], v[14:15], v[138:139]
	v_add_f64 v[9:10], v[10:11], v[0:1]
	v_fma_f64 v[114:115], v[114:115], s[22:23], v[110:111]
	v_fma_f64 v[118:119], v[116:117], s[20:21], -v[118:119]
	v_fma_f64 v[110:111], v[116:117], s[24:25], -v[110:111]
	v_mul_f64 v[116:117], v[108:109], s[6:7]
	v_fma_f64 v[0:1], v[0:1], s[16:17], v[9:10]
	s_delay_alu instid0(VALU_DEP_2) | instskip(SKIP_2) | instid1(VALU_DEP_4)
	v_fma_f64 v[116:117], v[22:23], s[14:15], -v[116:117]
	v_fma_f64 v[22:23], v[22:23], s[2:3], v[18:19]
	v_fma_f64 v[18:19], v[108:109], s[6:7], -v[18:19]
	v_add_f64 v[108:109], v[114:115], v[0:1]
	v_add_f64 v[114:115], v[118:119], v[0:1]
	;; [unrolled: 1-line block ×3, first 2 shown]
	v_fma_f64 v[110:111], v[14:15], s[0:1], v[116:117]
	v_fma_f64 v[22:23], v[14:15], s[0:1], v[22:23]
	;; [unrolled: 1-line block ×3, first 2 shown]
	s_delay_alu instid0(VALU_DEP_3) | instskip(NEXT) | instid1(VALU_DEP_3)
	v_add_f64 v[116:117], v[0:1], -v[110:111]
	v_add_f64 v[18:19], v[108:109], -v[22:23]
	s_delay_alu instid0(VALU_DEP_3)
	v_add_f64 v[118:119], v[14:15], v[114:115]
	ds_store_2addr_b64 v8, v[9:10], v[18:19] offset1:1
	ds_store_2addr_b64 v8, v[116:117], v[118:119] offset0:2 offset1:3
	v_add_f64 v[9:10], v[114:115], -v[14:15]
	v_add_f64 v[0:1], v[110:111], v[0:1]
	v_add_f64 v[14:15], v[22:23], v[108:109]
	ds_store_2addr_b64 v8, v[9:10], v[0:1] offset0:4 offset1:5
	ds_store_b64 v8, v[14:15] offset:48
	v_add_f64 v[0:1], v[158:159], v[166:167]
	v_add_f64 v[22:23], v[166:167], -v[164:165]
	v_add_f64 v[108:109], v[164:165], -v[158:159]
	;; [unrolled: 1-line block ×6, first 2 shown]
	v_add_f64 v[0:1], v[164:165], v[0:1]
	v_mul_f64 v[22:23], v[22:23], s[18:19]
	v_mul_f64 v[114:115], v[108:109], s[22:23]
	;; [unrolled: 1-line block ×3, first 2 shown]
	s_delay_alu instid0(VALU_DEP_4)
	v_add_f64 v[5:6], v[6:7], v[0:1]
	v_add_f64 v[7:8], v[170:171], v[162:163]
	v_fma_f64 v[108:109], v[108:109], s[22:23], v[22:23]
	v_fma_f64 v[114:115], v[110:111], s[20:21], -v[114:115]
	v_fma_f64 v[22:23], v[110:111], s[24:25], -v[22:23]
	v_mul_f64 v[110:111], v[18:19], s[6:7]
	v_fma_f64 v[0:1], v[0:1], s[16:17], v[5:6]
	v_add_f64 v[7:8], v[7:8], v[172:173]
	s_delay_alu instid0(VALU_DEP_3)
	v_fma_f64 v[110:111], v[14:15], s[14:15], -v[110:111]
	v_fma_f64 v[14:15], v[14:15], s[2:3], v[9:10]
	v_fma_f64 v[9:10], v[18:19], s[6:7], -v[9:10]
	v_add_f64 v[18:19], v[108:109], v[0:1]
	v_add_f64 v[108:109], v[114:115], v[0:1]
	;; [unrolled: 1-line block ×3, first 2 shown]
	v_fma_f64 v[22:23], v[7:8], s[0:1], v[110:111]
	v_fma_f64 v[14:15], v[7:8], s[0:1], v[14:15]
	;; [unrolled: 1-line block ×3, first 2 shown]
	s_delay_alu instid0(VALU_DEP_3) | instskip(NEXT) | instid1(VALU_DEP_3)
	v_add_f64 v[110:111], v[0:1], -v[22:23]
	v_add_f64 v[9:10], v[18:19], -v[14:15]
	s_delay_alu instid0(VALU_DEP_3)
	v_add_f64 v[114:115], v[7:8], v[108:109]
	ds_store_2addr_b64 v4, v[5:6], v[9:10] offset1:1
	ds_store_2addr_b64 v4, v[110:111], v[114:115] offset0:2 offset1:3
	v_add_f64 v[5:6], v[108:109], -v[7:8]
	v_add_f64 v[0:1], v[22:23], v[0:1]
	v_add_f64 v[7:8], v[14:15], v[18:19]
	ds_store_2addr_b64 v4, v[5:6], v[0:1] offset0:4 offset1:5
	ds_store_b64 v4, v[7:8] offset:48
	v_add_f64 v[0:1], v[182:183], v[174:175]
	v_add_f64 v[14:15], v[174:175], -v[188:189]
	v_add_f64 v[18:19], v[188:189], -v[182:183]
	;; [unrolled: 1-line block ×5, first 2 shown]
	v_add_f64 v[4:5], v[190:191], v[186:187]
	v_add_f64 v[8:9], v[178:179], -v[190:191]
	v_add_f64 v[0:1], v[188:189], v[0:1]
	v_mul_f64 v[14:15], v[14:15], s[18:19]
	v_mul_f64 v[108:109], v[18:19], s[22:23]
	;; [unrolled: 1-line block ×3, first 2 shown]
	v_add_f64 v[4:5], v[4:5], v[178:179]
	v_add_f64 v[2:3], v[2:3], v[0:1]
	v_fma_f64 v[18:19], v[18:19], s[22:23], v[14:15]
	v_fma_f64 v[108:109], v[22:23], s[20:21], -v[108:109]
	v_fma_f64 v[14:15], v[22:23], s[24:25], -v[14:15]
	v_mul_f64 v[22:23], v[10:11], s[6:7]
	v_fma_f64 v[0:1], v[0:1], s[16:17], v[2:3]
	s_delay_alu instid0(VALU_DEP_2) | instskip(SKIP_2) | instid1(VALU_DEP_4)
	v_fma_f64 v[22:23], v[8:9], s[14:15], -v[22:23]
	v_fma_f64 v[8:9], v[8:9], s[2:3], v[6:7]
	v_fma_f64 v[6:7], v[10:11], s[6:7], -v[6:7]
	v_add_f64 v[10:11], v[18:19], v[0:1]
	v_add_f64 v[18:19], v[108:109], v[0:1]
	;; [unrolled: 1-line block ×3, first 2 shown]
	v_fma_f64 v[14:15], v[4:5], s[0:1], v[22:23]
	v_fma_f64 v[8:9], v[4:5], s[0:1], v[8:9]
	;; [unrolled: 1-line block ×3, first 2 shown]
	s_delay_alu instid0(VALU_DEP_3) | instskip(NEXT) | instid1(VALU_DEP_3)
	v_add_f64 v[22:23], v[0:1], -v[14:15]
	v_add_f64 v[6:7], v[10:11], -v[8:9]
	s_delay_alu instid0(VALU_DEP_3)
	v_add_f64 v[108:109], v[4:5], v[18:19]
	ds_store_2addr_b64 v202, v[2:3], v[6:7] offset1:1
	ds_store_2addr_b64 v202, v[22:23], v[108:109] offset0:2 offset1:3
	v_add_f64 v[2:3], v[18:19], -v[4:5]
	v_add_f64 v[0:1], v[14:15], v[0:1]
	v_add_f64 v[4:5], v[8:9], v[10:11]
	s_clause 0x1
	scratch_store_b32 off, v202, off offset:556
	scratch_store_b32 off, v144, off offset:20
	ds_store_2addr_b64 v202, v[2:3], v[0:1] offset0:4 offset1:5
	ds_store_b64 v202, v[4:5] offset:48
	v_and_b32_e32 v0, 0xff, v144
	s_waitcnt lgkmcnt(0)
	s_waitcnt_vscnt null, 0x0
	s_barrier
	buffer_gl0_inv
	ds_load_2addr_b64 v[4:7], v208 offset0:87 offset1:136
	v_mul_lo_u16 v0, v0, 37
	s_delay_alu instid0(VALU_DEP_1) | instskip(NEXT) | instid1(VALU_DEP_1)
	v_lshrrev_b16 v0, 8, v0
	v_sub_nc_u16 v1, v144, v0
	s_delay_alu instid0(VALU_DEP_1) | instskip(NEXT) | instid1(VALU_DEP_1)
	v_lshrrev_b16 v1, 1, v1
	v_and_b32_e32 v1, 0x7f, v1
	s_delay_alu instid0(VALU_DEP_1) | instskip(NEXT) | instid1(VALU_DEP_1)
	v_add_nc_u16 v0, v1, v0
	v_lshrrev_b16 v108, 2, v0
	s_delay_alu instid0(VALU_DEP_1) | instskip(NEXT) | instid1(VALU_DEP_1)
	v_mul_lo_u16 v0, v108, 7
	v_sub_nc_u16 v0, v144, v0
	s_delay_alu instid0(VALU_DEP_1) | instskip(NEXT) | instid1(VALU_DEP_1)
	v_and_b32_e32 v109, 0xff, v0
	v_mul_u32_u24_e32 v0, 6, v109
	s_delay_alu instid0(VALU_DEP_1)
	v_lshlrev_b32_e32 v14, 4, v0
	s_clause 0x1
	global_load_b128 v[0:3], v14, s[4:5]
	global_load_b128 v[164:167], v14, s[4:5] offset:16
	s_waitcnt vmcnt(1) lgkmcnt(0)
	v_mul_f64 v[8:9], v[4:5], v[2:3]
	v_mul_f64 v[2:3], v[104:105], v[2:3]
	s_delay_alu instid0(VALU_DEP_2) | instskip(NEXT) | instid1(VALU_DEP_2)
	v_fma_f64 v[242:243], v[104:105], v[0:1], -v[8:9]
	v_fma_f64 v[240:241], v[4:5], v[0:1], v[2:3]
	v_and_b32_e32 v0, 0xff, v225
	s_delay_alu instid0(VALU_DEP_1) | instskip(NEXT) | instid1(VALU_DEP_1)
	v_mul_lo_u16 v0, v0, 37
	v_lshrrev_b16 v0, 8, v0
	s_delay_alu instid0(VALU_DEP_1) | instskip(NEXT) | instid1(VALU_DEP_1)
	v_sub_nc_u16 v1, v225, v0
	v_lshrrev_b16 v1, 1, v1
	s_delay_alu instid0(VALU_DEP_1) | instskip(NEXT) | instid1(VALU_DEP_1)
	v_and_b32_e32 v1, 0x7f, v1
	v_add_nc_u16 v0, v1, v0
	s_delay_alu instid0(VALU_DEP_1) | instskip(NEXT) | instid1(VALU_DEP_1)
	v_lshrrev_b16 v0, 2, v0
	v_mul_lo_u16 v1, v0, 7
	s_delay_alu instid0(VALU_DEP_1) | instskip(NEXT) | instid1(VALU_DEP_1)
	v_sub_nc_u16 v1, v225, v1
	v_and_b32_e32 v1, 0xff, v1
	s_delay_alu instid0(VALU_DEP_1) | instskip(NEXT) | instid1(VALU_DEP_1)
	v_mul_u32_u24_e32 v2, 6, v1
	v_lshlrev_b32_e32 v22, 4, v2
	s_clause 0x2
	global_load_b128 v[2:5], v22, s[4:5]
	global_load_b128 v[114:117], v22, s[4:5] offset:16
	global_load_b128 v[190:193], v14, s[4:5] offset:48
	s_waitcnt vmcnt(2)
	v_mul_f64 v[18:19], v[6:7], v[4:5]
	v_mul_f64 v[4:5], v[106:107], v[4:5]
	s_delay_alu instid0(VALU_DEP_2) | instskip(NEXT) | instid1(VALU_DEP_2)
	v_fma_f64 v[152:153], v[106:107], v[2:3], -v[18:19]
	v_fma_f64 v[140:141], v[6:7], v[2:3], v[4:5]
	global_load_b128 v[4:7], v14, s[4:5] offset:32
	ds_load_2addr_b64 v[104:107], v255 offset0:5 offset1:54
	s_clause 0x1
	global_load_b128 v[118:121], v22, s[4:5] offset:32
	global_load_b128 v[122:125], v22, s[4:5] offset:48
	s_waitcnt vmcnt(2) lgkmcnt(0)
	v_mul_f64 v[2:3], v[104:105], v[6:7]
	v_mul_f64 v[6:7], v[100:101], v[6:7]
	s_delay_alu instid0(VALU_DEP_2) | instskip(NEXT) | instid1(VALU_DEP_2)
	v_fma_f64 v[224:225], v[100:101], v[4:5], -v[2:3]
	v_fma_f64 v[220:221], v[104:105], v[4:5], v[6:7]
	s_waitcnt vmcnt(1)
	v_mul_f64 v[6:7], v[106:107], v[120:121]
	s_delay_alu instid0(VALU_DEP_1)
	v_fma_f64 v[158:159], v[102:103], v[118:119], -v[6:7]
	v_mul_f64 v[6:7], v[102:103], v[120:121]
	s_clause 0x1
	global_load_b128 v[100:103], v14, s[4:5] offset:64
	global_load_b128 v[244:247], v14, s[4:5] offset:80
	v_fma_f64 v[106:107], v[106:107], v[118:119], v[6:7]
	ds_load_2addr_b64 v[118:121], v209 offset0:179 offset1:228
	s_waitcnt vmcnt(1) lgkmcnt(0)
	v_mul_f64 v[6:7], v[118:119], v[102:103]
	v_mul_f64 v[14:15], v[96:97], v[102:103]
	s_delay_alu instid0(VALU_DEP_2) | instskip(NEXT) | instid1(VALU_DEP_2)
	v_fma_f64 v[154:155], v[96:97], v[100:101], -v[6:7]
	v_fma_f64 v[218:219], v[118:119], v[100:101], v[14:15]
	s_clause 0x1
	global_load_b128 v[100:103], v22, s[4:5] offset:64
	global_load_b128 v[126:129], v22, s[4:5] offset:80
	s_waitcnt vmcnt(1)
	v_mul_f64 v[18:19], v[120:121], v[102:103]
	s_delay_alu instid0(VALU_DEP_1)
	v_fma_f64 v[156:157], v[98:99], v[100:101], -v[18:19]
	v_mul_f64 v[18:19], v[98:99], v[102:103]
	ds_load_2addr_b64 v[96:99], v206 offset0:95 offset1:144
	v_fma_f64 v[118:119], v[120:121], v[100:101], v[18:19]
	s_waitcnt lgkmcnt(0)
	v_mul_f64 v[18:19], v[96:97], v[116:117]
	s_delay_alu instid0(VALU_DEP_1) | instskip(SKIP_1) | instid1(VALU_DEP_4)
	v_fma_f64 v[130:131], v[92:93], v[114:115], -v[18:19]
	v_mul_f64 v[18:19], v[92:93], v[116:117]
	v_dual_mov_b32 v116, v118 :: v_dual_mov_b32 v117, v119
	s_delay_alu instid0(VALU_DEP_2) | instskip(SKIP_3) | instid1(VALU_DEP_1)
	v_fma_f64 v[138:139], v[96:97], v[114:115], v[18:19]
	v_and_b32_e32 v18, 0xff, v248
	scratch_store_b32 off, v18, off offset:32 ; 4-byte Folded Spill
	v_mul_lo_u16 v18, v18, 37
	v_lshrrev_b16 v18, 8, v18
	s_delay_alu instid0(VALU_DEP_1) | instskip(NEXT) | instid1(VALU_DEP_1)
	v_sub_nc_u16 v19, v248, v18
	v_lshrrev_b16 v19, 1, v19
	s_delay_alu instid0(VALU_DEP_1) | instskip(NEXT) | instid1(VALU_DEP_1)
	v_and_b32_e32 v19, 0x7f, v19
	v_add_nc_u16 v18, v19, v18
	s_delay_alu instid0(VALU_DEP_1) | instskip(NEXT) | instid1(VALU_DEP_1)
	v_lshrrev_b16 v92, 2, v18
	v_mul_lo_u16 v18, v92, 7
	s_delay_alu instid0(VALU_DEP_1) | instskip(NEXT) | instid1(VALU_DEP_1)
	v_sub_nc_u16 v18, v248, v18
	v_and_b32_e32 v93, 0xff, v18
	s_delay_alu instid0(VALU_DEP_1) | instskip(NEXT) | instid1(VALU_DEP_1)
	v_mul_u32_u24_e32 v18, 6, v93
	v_lshlrev_b32_e32 v22, 4, v18
	s_clause 0x1
	global_load_b128 v[100:103], v22, s[4:5] offset:16
	global_load_b128 v[132:135], v22, s[4:5]
	s_waitcnt vmcnt(1)
	v_mul_f64 v[18:19], v[98:99], v[102:103]
	s_delay_alu instid0(VALU_DEP_1)
	v_fma_f64 v[142:143], v[94:95], v[100:101], -v[18:19]
	v_mul_f64 v[18:19], v[94:95], v[102:103]
	ds_load_2addr_b64 v[94:97], v210 offset0:141 offset1:190
	v_fma_f64 v[178:179], v[98:99], v[100:101], v[18:19]
	s_clause 0x1
	global_load_b128 v[98:101], v22, s[4:5] offset:48
	global_load_b128 v[102:105], v22, s[4:5] offset:32
	s_waitcnt lgkmcnt(0)
	v_mul_f64 v[18:19], v[94:95], v[124:125]
	s_delay_alu instid0(VALU_DEP_1) | instskip(SKIP_1) | instid1(VALU_DEP_1)
	v_fma_f64 v[150:151], v[88:89], v[122:123], -v[18:19]
	v_mul_f64 v[18:19], v[88:89], v[124:125]
	v_fma_f64 v[198:199], v[94:95], v[122:123], v[18:19]
	s_waitcnt vmcnt(1)
	v_mul_f64 v[18:19], v[96:97], v[100:101]
	s_delay_alu instid0(VALU_DEP_1)
	v_fma_f64 v[252:253], v[90:91], v[98:99], -v[18:19]
	v_mul_f64 v[18:19], v[90:91], v[100:101]
	ds_load_2addr_b64 v[88:91], v211 offset0:59 offset1:108
	v_fma_f64 v[188:189], v[96:97], v[98:99], v[18:19]
	s_clause 0x1
	global_load_b128 v[94:97], v22, s[4:5] offset:80
	global_load_b128 v[98:101], v22, s[4:5] offset:64
	s_waitcnt lgkmcnt(0)
	v_mul_f64 v[18:19], v[88:89], v[128:129]
	s_delay_alu instid0(VALU_DEP_1) | instskip(SKIP_2) | instid1(VALU_DEP_2)
	v_fma_f64 v[194:195], v[84:85], v[126:127], -v[18:19]
	v_mul_f64 v[18:19], v[84:85], v[128:129]
	v_dual_mov_b32 v129, v217 :: v_dual_mov_b32 v128, v215
	v_fma_f64 v[162:163], v[88:89], v[126:127], v[18:19]
	v_dual_mov_b32 v126, v188 :: v_dual_mov_b32 v127, v189
	s_waitcnt vmcnt(1)
	v_mul_f64 v[18:19], v[90:91], v[96:97]
	s_delay_alu instid0(VALU_DEP_1)
	v_fma_f64 v[114:115], v[86:87], v[94:95], -v[18:19]
	v_mul_f64 v[18:19], v[86:87], v[96:97]
	ds_load_2addr_b64 v[84:87], v208 offset0:185 offset1:234
	v_fma_f64 v[226:227], v[90:91], v[94:95], v[18:19]
	s_waitcnt lgkmcnt(0)
	v_mul_f64 v[18:19], v[84:85], v[134:135]
	s_delay_alu instid0(VALU_DEP_1) | instskip(SKIP_1) | instid1(VALU_DEP_1)
	v_fma_f64 v[136:137], v[80:81], v[132:133], -v[18:19]
	v_mul_f64 v[18:19], v[80:81], v[134:135]
	v_fma_f64 v[112:113], v[84:85], v[132:133], v[18:19]
	v_and_b32_e32 v18, 0xff, v249
	scratch_store_b32 off, v18, off offset:64 ; 4-byte Folded Spill
	v_mul_lo_u16 v18, v18, 37
	s_delay_alu instid0(VALU_DEP_1) | instskip(NEXT) | instid1(VALU_DEP_1)
	v_lshrrev_b16 v18, 8, v18
	v_sub_nc_u16 v19, v249, v18
	s_delay_alu instid0(VALU_DEP_1) | instskip(NEXT) | instid1(VALU_DEP_1)
	v_lshrrev_b16 v19, 1, v19
	v_and_b32_e32 v19, 0x7f, v19
	s_delay_alu instid0(VALU_DEP_1) | instskip(NEXT) | instid1(VALU_DEP_1)
	v_add_nc_u16 v18, v19, v18
	v_lshrrev_b16 v80, 2, v18
	s_delay_alu instid0(VALU_DEP_1) | instskip(NEXT) | instid1(VALU_DEP_1)
	v_mul_lo_u16 v18, v80, 7
	v_sub_nc_u16 v18, v249, v18
	s_delay_alu instid0(VALU_DEP_1) | instskip(NEXT) | instid1(VALU_DEP_1)
	v_and_b32_e32 v81, 0xff, v18
	v_mul_u32_u24_e32 v18, 6, v81
	s_delay_alu instid0(VALU_DEP_1)
	v_lshlrev_b32_e32 v22, 4, v18
	s_clause 0x1
	global_load_b128 v[88:91], v22, s[4:5]
	global_load_b128 v[94:97], v22, s[4:5] offset:16
	s_waitcnt vmcnt(1)
	v_mul_f64 v[18:19], v[86:87], v[90:91]
	s_delay_alu instid0(VALU_DEP_1)
	v_fma_f64 v[196:197], v[82:83], v[88:89], -v[18:19]
	v_mul_f64 v[18:19], v[82:83], v[90:91]
	ds_load_2addr_b64 v[82:85], v255 offset0:103 offset1:152
	v_fma_f64 v[2:3], v[86:87], v[88:89], v[18:19]
	s_waitcnt lgkmcnt(0)
	v_mul_f64 v[18:19], v[82:83], v[104:105]
	scratch_store_b64 off, v[2:3], off offset:312 ; 8-byte Folded Spill
	v_fma_f64 v[132:133], v[76:77], v[102:103], -v[18:19]
	v_mul_f64 v[18:19], v[76:77], v[104:105]
	s_delay_alu instid0(VALU_DEP_1)
	v_fma_f64 v[160:161], v[82:83], v[102:103], v[18:19]
	s_clause 0x1
	global_load_b128 v[86:89], v22, s[4:5] offset:32
	global_load_b128 v[102:105], v22, s[4:5] offset:48
	s_waitcnt vmcnt(1)
	v_mul_f64 v[18:19], v[84:85], v[88:89]
	s_delay_alu instid0(VALU_DEP_1)
	v_fma_f64 v[200:201], v[78:79], v[86:87], -v[18:19]
	v_mul_f64 v[18:19], v[78:79], v[88:89]
	ds_load_2addr_b64 v[76:79], v228 offset0:21 offset1:70
	v_fma_f64 v[110:111], v[84:85], v[86:87], v[18:19]
	s_clause 0x1
	global_load_b128 v[82:85], v22, s[4:5] offset:64
	global_load_b128 v[86:89], v22, s[4:5] offset:80
	s_waitcnt lgkmcnt(0)
	v_mul_f64 v[18:19], v[76:77], v[100:101]
	s_delay_alu instid0(VALU_DEP_1) | instskip(SKIP_1) | instid1(VALU_DEP_1)
	v_fma_f64 v[122:123], v[72:73], v[98:99], -v[18:19]
	v_mul_f64 v[18:19], v[72:73], v[100:101]
	v_fma_f64 v[100:101], v[76:77], v[98:99], v[18:19]
	s_waitcnt vmcnt(1)
	v_mul_f64 v[18:19], v[78:79], v[84:85]
	s_delay_alu instid0(VALU_DEP_1)
	v_fma_f64 v[16:17], v[74:75], v[82:83], -v[18:19]
	v_mul_f64 v[18:19], v[74:75], v[84:85]
	ds_load_2addr_b64 v[72:75], v230 offset0:65 offset1:114
	v_mov_b32_e32 v119, v17
	v_fma_f64 v[98:99], v[78:79], v[82:83], v[18:19]
	s_waitcnt lgkmcnt(0)
	v_mul_f64 v[18:19], v[72:73], v[96:97]
	v_mov_b32_e32 v118, v16
	s_delay_alu instid0(VALU_DEP_2) | instskip(SKIP_1) | instid1(VALU_DEP_1)
	v_fma_f64 v[234:235], v[68:69], v[94:95], -v[18:19]
	v_mul_f64 v[18:19], v[68:69], v[96:97]
	v_fma_f64 v[238:239], v[72:73], v[94:95], v[18:19]
	v_and_b32_e32 v18, 0xff, v250
	scratch_store_b32 off, v18, off offset:48 ; 4-byte Folded Spill
	v_mul_lo_u16 v18, v18, 37
	s_delay_alu instid0(VALU_DEP_1) | instskip(NEXT) | instid1(VALU_DEP_1)
	v_lshrrev_b16 v18, 8, v18
	v_sub_nc_u16 v19, v250, v18
	s_delay_alu instid0(VALU_DEP_1) | instskip(NEXT) | instid1(VALU_DEP_1)
	v_lshrrev_b16 v19, 1, v19
	v_and_b32_e32 v19, 0x7f, v19
	s_delay_alu instid0(VALU_DEP_1) | instskip(NEXT) | instid1(VALU_DEP_1)
	v_add_nc_u16 v18, v19, v18
	v_lshrrev_b16 v68, 2, v18
	s_delay_alu instid0(VALU_DEP_1) | instskip(NEXT) | instid1(VALU_DEP_1)
	v_mul_lo_u16 v18, v68, 7
	v_sub_nc_u16 v18, v250, v18
	s_delay_alu instid0(VALU_DEP_1) | instskip(NEXT) | instid1(VALU_DEP_1)
	v_and_b32_e32 v69, 0xff, v18
	v_mul_u32_u24_e32 v18, 6, v69
	s_delay_alu instid0(VALU_DEP_1)
	v_lshlrev_b32_e32 v22, 4, v18
	s_clause 0x1
	global_load_b128 v[76:79], v22, s[4:5] offset:16
	global_load_b128 v[82:85], v22, s[4:5]
	s_waitcnt vmcnt(1)
	v_mul_f64 v[18:19], v[74:75], v[78:79]
	s_delay_alu instid0(VALU_DEP_1)
	v_fma_f64 v[2:3], v[70:71], v[76:77], -v[18:19]
	v_mul_f64 v[18:19], v[70:71], v[78:79]
	ds_load_2addr_b64 v[70:73], v203 offset0:111 offset1:160
	scratch_store_b64 off, v[2:3], off offset:256 ; 8-byte Folded Spill
	v_fma_f64 v[2:3], v[74:75], v[76:77], v[18:19]
	s_waitcnt lgkmcnt(0)
	v_mul_f64 v[18:19], v[70:71], v[104:105]
	scratch_store_b64 off, v[2:3], off offset:232 ; 8-byte Folded Spill
	s_clause 0x1
	global_load_b128 v[74:77], v22, s[4:5] offset:48
	global_load_b128 v[94:97], v22, s[4:5] offset:32
	v_fma_f64 v[10:11], v[64:65], v[102:103], -v[18:19]
	v_mul_f64 v[18:19], v[64:65], v[104:105]
	s_delay_alu instid0(VALU_DEP_1) | instskip(NEXT) | instid1(VALU_DEP_3)
	v_fma_f64 v[170:171], v[70:71], v[102:103], v[18:19]
	v_dual_mov_b32 v103, v11 :: v_dual_mov_b32 v102, v10
	s_waitcnt vmcnt(1)
	v_mul_f64 v[18:19], v[72:73], v[76:77]
	s_delay_alu instid0(VALU_DEP_1)
	v_fma_f64 v[2:3], v[66:67], v[74:75], -v[18:19]
	v_mul_f64 v[18:19], v[66:67], v[76:77]
	ds_load_2addr_b64 v[64:67], v211 offset0:157 offset1:206
	scratch_store_b64 off, v[2:3], off offset:304 ; 8-byte Folded Spill
	v_fma_f64 v[2:3], v[72:73], v[74:75], v[18:19]
	s_waitcnt lgkmcnt(0)
	v_mul_f64 v[18:19], v[64:65], v[88:89]
	scratch_store_b64 off, v[2:3], off offset:280 ; 8-byte Folded Spill
	s_clause 0x1
	global_load_b128 v[70:73], v22, s[4:5] offset:80
	global_load_b128 v[74:77], v22, s[4:5] offset:64
	v_fma_f64 v[236:237], v[60:61], v[86:87], -v[18:19]
	v_mul_f64 v[18:19], v[60:61], v[88:89]
	s_delay_alu instid0(VALU_DEP_1) | instskip(SKIP_3) | instid1(VALU_DEP_1)
	v_fma_f64 v[186:187], v[64:65], v[86:87], v[18:19]
	v_dual_mov_b32 v86, v226 :: v_dual_mov_b32 v87, v227
	s_waitcnt vmcnt(1)
	v_mul_f64 v[18:19], v[66:67], v[72:73]
	v_fma_f64 v[182:183], v[62:63], v[70:71], -v[18:19]
	v_mul_f64 v[18:19], v[62:63], v[72:73]
	ds_load_2addr_b64 v[60:63], v233 offset0:27 offset1:76
	v_fma_f64 v[2:3], v[66:67], v[70:71], v[18:19]
	s_waitcnt lgkmcnt(0)
	v_mul_f64 v[18:19], v[60:61], v[84:85]
	scratch_store_b64 off, v[2:3], off offset:320 ; 8-byte Folded Spill
	v_fma_f64 v[120:121], v[56:57], v[82:83], -v[18:19]
	v_mul_f64 v[18:19], v[56:57], v[84:85]
	v_mov_b32_e32 v56, v145
	s_delay_alu instid0(VALU_DEP_2) | instskip(SKIP_3) | instid1(VALU_DEP_1)
	v_fma_f64 v[2:3], v[60:61], v[82:83], v[18:19]
	v_and_b32_e32 v18, 0xffff, v251
	scratch_store_b32 off, v18, off offset:56 ; 4-byte Folded Spill
	v_mul_u32_u24_e32 v18, 0x2493, v18
	v_lshrrev_b32_e32 v18, 16, v18
	s_delay_alu instid0(VALU_DEP_1) | instskip(NEXT) | instid1(VALU_DEP_1)
	v_sub_nc_u16 v19, v251, v18
	v_lshrrev_b16 v19, 1, v19
	s_delay_alu instid0(VALU_DEP_1) | instskip(NEXT) | instid1(VALU_DEP_1)
	v_add_nc_u16 v18, v19, v18
	v_lshrrev_b16 v216, 2, v18
	s_delay_alu instid0(VALU_DEP_1) | instskip(SKIP_2) | instid1(VALU_DEP_1)
	v_mul_lo_u16 v18, v216, 7
	scratch_store_b64 off, v[2:3], off offset:328 ; 8-byte Folded Spill
	v_sub_nc_u16 v18, v251, v18
	v_and_b32_e32 v8, 0xffff, v18
	s_delay_alu instid0(VALU_DEP_1) | instskip(NEXT) | instid1(VALU_DEP_1)
	v_mul_u32_u24_e32 v18, 6, v8
	v_lshlrev_b32_e32 v22, 4, v18
	s_clause 0x1
	global_load_b128 v[64:67], v22, s[4:5]
	global_load_b128 v[70:73], v22, s[4:5] offset:16
	s_waitcnt vmcnt(1)
	v_mul_f64 v[18:19], v[62:63], v[66:67]
	s_delay_alu instid0(VALU_DEP_1)
	v_fma_f64 v[2:3], v[58:59], v[64:65], -v[18:19]
	v_mul_f64 v[18:19], v[58:59], v[66:67]
	ds_load_2addr_b64 v[58:61], v255 offset0:201 offset1:250
	v_lshl_add_u32 v67, v248, 3, 0
	scratch_store_b64 off, v[2:3], off offset:240 ; 8-byte Folded Spill
	v_fma_f64 v[2:3], v[62:63], v[64:65], v[18:19]
	s_waitcnt lgkmcnt(0)
	v_mul_f64 v[18:19], v[58:59], v[96:97]
	scratch_store_b64 off, v[2:3], off offset:192 ; 8-byte Folded Spill
	s_clause 0x1
	global_load_b128 v[62:65], v22, s[4:5] offset:32
	global_load_b128 v[88:91], v22, s[4:5] offset:48
	v_fma_f64 v[172:173], v[52:53], v[94:95], -v[18:19]
	v_mul_f64 v[18:19], v[52:53], v[96:97]
	v_mov_b32_e32 v96, v236
	v_dual_mov_b32 v84, v110 :: v_dual_mov_b32 v85, v111
	v_mov_b32_e32 v97, v237
	s_delay_alu instid0(VALU_DEP_4) | instskip(SKIP_2) | instid1(VALU_DEP_1)
	v_fma_f64 v[174:175], v[58:59], v[94:95], v[18:19]
	s_waitcnt vmcnt(1)
	v_mul_f64 v[18:19], v[60:61], v[64:65]
	v_fma_f64 v[2:3], v[54:55], v[62:63], -v[18:19]
	v_mul_f64 v[18:19], v[54:55], v[64:65]
	ds_load_2addr_b64 v[52:55], v228 offset0:119 offset1:168
	scratch_store_b64 off, v[2:3], off offset:288 ; 8-byte Folded Spill
	v_fma_f64 v[2:3], v[60:61], v[62:63], v[18:19]
	s_waitcnt lgkmcnt(0)
	v_mul_f64 v[18:19], v[52:53], v[76:77]
	scratch_store_b64 off, v[2:3], off offset:248 ; 8-byte Folded Spill
	s_clause 0x1
	global_load_b128 v[58:61], v22, s[4:5] offset:64
	global_load_b128 v[62:65], v22, s[4:5] offset:80
	v_fma_f64 v[14:15], v[48:49], v[74:75], -v[18:19]
	v_mul_f64 v[18:19], v[48:49], v[76:77]
	v_mul_f64 v[22:23], v[42:43], v[166:167]
	s_delay_alu instid0(VALU_DEP_2) | instskip(SKIP_2) | instid1(VALU_DEP_1)
	v_fma_f64 v[74:75], v[52:53], v[74:75], v[18:19]
	s_waitcnt vmcnt(1)
	v_mul_f64 v[18:19], v[54:55], v[60:61]
	v_fma_f64 v[180:181], v[50:51], v[58:59], -v[18:19]
	v_mul_f64 v[18:19], v[50:51], v[60:61]
	ds_load_2addr_b64 v[48:51], v233 offset0:125 offset1:174
	s_waitcnt lgkmcnt(0)
	v_fma_f64 v[82:83], v[50:51], v[164:165], v[22:23]
	v_fma_f64 v[124:125], v[54:55], v[58:59], v[18:19]
	v_mul_f64 v[18:19], v[50:51], v[166:167]
	s_delay_alu instid0(VALU_DEP_1) | instskip(SKIP_3) | instid1(VALU_DEP_1)
	v_fma_f64 v[76:77], v[42:43], v[164:165], -v[18:19]
	v_and_b32_e32 v42, 0xffff, v232
	scratch_store_b32 off, v42, off offset:40 ; 4-byte Folded Spill
	v_mul_u32_u24_e32 v42, 0x2493, v42
	v_lshrrev_b32_e32 v42, 16, v42
	s_delay_alu instid0(VALU_DEP_1) | instskip(NEXT) | instid1(VALU_DEP_1)
	v_sub_nc_u16 v43, v232, v42
	v_lshrrev_b16 v43, 1, v43
	s_delay_alu instid0(VALU_DEP_1) | instskip(NEXT) | instid1(VALU_DEP_1)
	v_add_nc_u16 v42, v43, v42
	v_lshrrev_b16 v42, 2, v42
	s_delay_alu instid0(VALU_DEP_1) | instskip(NEXT) | instid1(VALU_DEP_1)
	v_mul_lo_u16 v43, v42, 7
	v_sub_nc_u16 v43, v232, v43
	s_delay_alu instid0(VALU_DEP_1) | instskip(NEXT) | instid1(VALU_DEP_1)
	v_and_b32_e32 v43, 0xffff, v43
	v_mul_u32_u24_e32 v50, 6, v43
	s_delay_alu instid0(VALU_DEP_1)
	v_lshlrev_b32_e32 v66, 4, v50
	s_clause 0x1
	global_load_b128 v[50:53], v66, s[4:5]
	global_load_b128 v[58:61], v66, s[4:5] offset:16
	s_waitcnt vmcnt(1)
	v_mul_f64 v[54:55], v[48:49], v[52:53]
	s_delay_alu instid0(VALU_DEP_1)
	v_fma_f64 v[2:3], v[40:41], v[50:51], -v[54:55]
	v_mul_f64 v[40:41], v[40:41], v[52:53]
	scratch_store_b64 off, v[2:3], off offset:344 ; 8-byte Folded Spill
	v_fma_f64 v[2:3], v[48:49], v[50:51], v[40:41]
	ds_load_2addr_b64 v[48:51], v230 offset0:163 offset1:212
	s_waitcnt lgkmcnt(0)
	v_mul_f64 v[40:41], v[48:49], v[72:73]
	scratch_store_b64 off, v[2:3], off offset:296 ; 8-byte Folded Spill
	v_fma_f64 v[18:19], v[44:45], v[70:71], -v[40:41]
	v_mul_f64 v[40:41], v[44:45], v[72:73]
	s_delay_alu instid0(VALU_DEP_1) | instskip(SKIP_4) | instid1(VALU_DEP_3)
	v_fma_f64 v[78:79], v[48:49], v[70:71], v[40:41]
	s_waitcnt vmcnt(0)
	v_mul_f64 v[40:41], v[50:51], v[60:61]
	v_lshl_add_u32 v71, v250, 3, 0
	v_lshl_add_u32 v70, v251, 3, 0
	v_fma_f64 v[166:167], v[46:47], v[58:59], -v[40:41]
	v_mul_f64 v[40:41], v[46:47], v[60:61]
	ds_load_2addr_b64 v[44:47], v210 offset0:43 offset1:92
	v_fma_f64 v[164:165], v[50:51], v[58:59], v[40:41]
	s_waitcnt lgkmcnt(0)
	v_mul_f64 v[40:41], v[46:47], v[192:193]
	s_delay_alu instid0(VALU_DEP_1) | instskip(SKIP_1) | instid1(VALU_DEP_1)
	v_fma_f64 v[6:7], v[34:35], v[190:191], -v[40:41]
	v_mul_f64 v[34:35], v[34:35], v[192:193]
	v_fma_f64 v[4:5], v[46:47], v[190:191], v[34:35]
	v_mov_b32_e32 v35, v15
	s_clause 0x1
	global_load_b128 v[46:49], v66, s[4:5] offset:32
	global_load_b128 v[50:53], v66, s[4:5] offset:48
	v_mov_b32_e32 v34, v14
	s_waitcnt vmcnt(1)
	v_mul_f64 v[54:55], v[44:45], v[48:49]
	s_delay_alu instid0(VALU_DEP_1) | instskip(SKIP_1) | instid1(VALU_DEP_1)
	v_fma_f64 v[184:185], v[32:33], v[46:47], -v[54:55]
	v_mul_f64 v[32:33], v[32:33], v[48:49]
	v_fma_f64 v[202:203], v[44:45], v[46:47], v[32:33]
	ds_load_2addr_b64 v[44:47], v209 offset0:81 offset1:130
	s_waitcnt lgkmcnt(0)
	v_mul_f64 v[32:33], v[44:45], v[90:91]
	v_dual_mov_b32 v94, v202 :: v_dual_mov_b32 v95, v203
	v_add_f64 v[202:203], v[82:83], v[218:219]
	s_delay_alu instid0(VALU_DEP_3) | instskip(SKIP_1) | instid1(VALU_DEP_1)
	v_fma_f64 v[190:191], v[36:37], v[88:89], -v[32:33]
	v_mul_f64 v[32:33], v[36:37], v[90:91]
	v_fma_f64 v[192:193], v[44:45], v[88:89], v[32:33]
	s_waitcnt vmcnt(0)
	v_mul_f64 v[32:33], v[46:47], v[52:53]
	s_delay_alu instid0(VALU_DEP_1)
	v_fma_f64 v[90:91], v[38:39], v[50:51], -v[32:33]
	v_mul_f64 v[32:33], v[38:39], v[52:53]
	ds_load_2addr_b64 v[36:39], v215 offset0:89 offset1:138
	v_fma_f64 v[204:205], v[46:47], v[50:51], v[32:33]
	s_clause 0x1
	global_load_b128 v[44:47], v66, s[4:5] offset:64
	global_load_b128 v[48:51], v66, s[4:5] offset:80
	s_waitcnt lgkmcnt(0)
	v_mul_f64 v[32:33], v[38:39], v[246:247]
	scratch_load_b32 v57, off, off          ; 4-byte Folded Reload
	v_lshl_add_u32 v66, v249, 3, 0
	s_clause 0x3
	scratch_store_b32 off, v67, off offset:16
	scratch_store_b32 off, v71, off offset:8
	;; [unrolled: 1-line block ×4, first 2 shown]
	v_fma_f64 v[2:3], v[26:27], v[244:245], -v[32:33]
	v_mul_f64 v[26:27], v[26:27], v[246:247]
	s_delay_alu instid0(VALU_DEP_1)
	v_fma_f64 v[246:247], v[38:39], v[244:245], v[26:27]
	ds_load_b64 v[244:245], v254
	v_add_f64 v[52:53], v[240:241], -v[246:247]
	s_waitcnt vmcnt(2)
	v_mul_f64 v[38:39], v[36:37], v[46:47]
	s_waitcnt vmcnt(0)
	ds_load_b64 v[168:169], v57
	v_fma_f64 v[134:135], v[24:25], v[44:45], -v[38:39]
	v_mul_f64 v[24:25], v[24:25], v[46:47]
	s_delay_alu instid0(VALU_DEP_1) | instskip(SKIP_3) | instid1(VALU_DEP_1)
	v_fma_f64 v[88:89], v[36:37], v[44:45], v[24:25]
	ds_load_2addr_b64 v[36:39], v217 offset0:127 offset1:176
	s_waitcnt lgkmcnt(0)
	v_mul_f64 v[24:25], v[36:37], v[64:65]
	v_fma_f64 v[22:23], v[28:29], v[62:63], -v[24:25]
	v_mul_f64 v[24:25], v[28:29], v[64:65]
	v_and_b32_e32 v0, 0xffff, v0
	s_delay_alu instid0(VALU_DEP_2) | instskip(SKIP_2) | instid1(VALU_DEP_2)
	v_fma_f64 v[72:73], v[36:37], v[62:63], v[24:25]
	v_mul_f64 v[24:25], v[38:39], v[50:51]
	v_add_f64 v[36:37], v[242:243], v[2:3]
	v_fma_f64 v[146:147], v[30:31], v[48:49], -v[24:25]
	v_mul_f64 v[24:25], v[30:31], v[50:51]
	v_add_f64 v[50:51], v[82:83], -v[218:219]
	s_delay_alu instid0(VALU_DEP_2)
	v_fma_f64 v[206:207], v[38:39], v[48:49], v[24:25]
	v_add_f64 v[38:39], v[76:77], v[154:155]
	v_and_b32_e32 v24, 0xffff, v108
	v_dual_mov_b32 v108, v138 :: v_dual_lshlrev_b32 v25, 3, v109
	v_mov_b32_e32 v109, v139
	v_mov_b32_e32 v139, v123
	s_delay_alu instid0(VALU_DEP_4) | instskip(SKIP_3) | instid1(VALU_DEP_4)
	v_mul_u32_u24_e32 v24, 0x188, v24
	v_mov_b32_e32 v10, v78
	v_dual_mov_b32 v138, v122 :: v_dual_mov_b32 v11, v79
	v_mov_b32_e32 v122, v160
	v_add3_u32 v149, 0, v24, v25
	v_add_f64 v[24:25], v[224:225], v[6:7]
	v_mov_b32_e32 v123, v161
	v_dual_mov_b32 v161, v91 :: v_dual_mov_b32 v160, v90
	v_dual_mov_b32 v90, v204 :: v_dual_mov_b32 v91, v205
	v_add_f64 v[204:205], v[242:243], -v[2:3]
	v_add_f64 v[2:3], v[6:7], -v[224:225]
	v_add_f64 v[28:29], v[38:39], v[36:37]
	v_add_f64 v[30:31], v[36:37], -v[24:25]
	v_add_f64 v[44:45], v[24:25], -v[38:39]
	;; [unrolled: 1-line block ×4, first 2 shown]
	v_add_f64 v[28:29], v[24:25], v[28:29]
	v_add_f64 v[24:25], v[4:5], -v[220:221]
	v_add_f64 v[4:5], v[220:221], v[4:5]
	v_mul_f64 v[48:49], v[30:31], s[18:19]
	s_delay_alu instid0(VALU_DEP_4) | instskip(NEXT) | instid1(VALU_DEP_4)
	v_add_f64 v[46:47], v[222:223], v[28:29]
	v_add_f64 v[54:55], v[24:25], -v[50:51]
	v_add_f64 v[30:31], v[24:25], v[50:51]
	v_add_f64 v[58:59], v[52:53], -v[24:25]
	v_fma_f64 v[24:25], v[44:45], s[22:23], v[48:49]
	v_mul_f64 v[44:45], v[44:45], s[22:23]
	v_fma_f64 v[62:63], v[28:29], s[16:17], v[46:47]
	v_mul_f64 v[54:55], v[54:55], s[12:13]
	v_add_f64 v[60:61], v[30:31], v[52:53]
	s_delay_alu instid0(VALU_DEP_4) | instskip(SKIP_3) | instid1(VALU_DEP_4)
	v_fma_f64 v[44:45], v[36:37], s[20:21], -v[44:45]
	v_fma_f64 v[36:37], v[36:37], s[24:25], -v[48:49]
	v_add_f64 v[28:29], v[24:25], v[62:63]
	v_fma_f64 v[24:25], v[58:59], s[2:3], v[54:55]
	v_add_f64 v[44:45], v[44:45], v[62:63]
	s_delay_alu instid0(VALU_DEP_4) | instskip(NEXT) | instid1(VALU_DEP_3)
	v_add_f64 v[36:37], v[36:37], v[62:63]
	v_fma_f64 v[30:31], v[60:61], s[0:1], v[24:25]
	ds_load_b64 v[24:25], v67
	s_waitcnt lgkmcnt(0)
	scratch_store_b64 off, v[24:25], off offset:440 ; 8-byte Folded Spill
	ds_load_b64 v[24:25], v66
	v_add_f64 v[64:65], v[30:31], v[28:29]
	v_add_f64 v[28:29], v[28:29], -v[30:31]
	v_add_f64 v[30:31], v[158:159], v[150:151]
	s_waitcnt lgkmcnt(0)
	scratch_store_b64 off, v[24:25], off offset:432 ; 8-byte Folded Spill
	ds_load_b64 v[24:25], v71
	s_waitcnt lgkmcnt(0)
	scratch_store_b64 off, v[24:25], off offset:424 ; 8-byte Folded Spill
	ds_load_b64 v[24:25], v70
	;; [unrolled: 3-line block ×3, first 2 shown]
	scratch_store_b32 off, v56, off offset:120 ; 4-byte Folded Spill
	v_dual_mov_b32 v145, v107 :: v_dual_mov_b32 v144, v106
	v_dual_mov_b32 v106, v140 :: v_dual_lshlrev_b32 v1, 3, v1
	v_mov_b32_e32 v107, v141
	v_dual_mov_b32 v141, v115 :: v_dual_mov_b32 v140, v114
	v_dual_mov_b32 v115, v101 :: v_dual_mov_b32 v114, v100
	v_dual_mov_b32 v100, v234 :: v_dual_mov_b32 v101, v235
	s_waitcnt lgkmcnt(0)
	scratch_store_b64 off, v[24:25], off offset:408 ; 8-byte Folded Spill
	s_waitcnt_vscnt null, 0x0
	s_barrier
	buffer_gl0_inv
	ds_store_2addr_b64 v149, v[46:47], v[64:65] offset1:7
	v_mul_f64 v[46:47], v[38:39], s[6:7]
	v_fma_f64 v[38:39], v[38:39], s[6:7], -v[54:55]
	v_mov_b32_e32 v25, v23
	v_mul_u32_u24_e32 v0, 0x188, v0
	ds_store_b64 v149, v[28:29] offset:336
	v_add_f64 v[28:29], v[130:131], v[156:157]
	s_clause 0x1
	scratch_load_b64 v[188:189], off, off offset:256
	scratch_load_b64 v[26:27], off, off offset:280
	v_add3_u32 v223, 0, v0, v1
	v_add_f64 v[0:1], v[152:153], v[194:195]
	s_clause 0x1
	scratch_load_b64 v[40:41], off, off offset:304
	scratch_load_b64 v[236:237], off, off offset:232
	v_dual_mov_b32 v24, v22 :: v_dual_mov_b32 v23, v19
	v_add_f64 v[130:131], v[130:131], -v[156:157]
	v_mov_b32_e32 v22, v18
	v_fma_f64 v[46:47], v[58:59], s[14:15], -v[46:47]
	v_fma_f64 v[38:39], v[60:61], s[0:1], v[38:39]
	s_delay_alu instid0(VALU_DEP_2) | instskip(NEXT) | instid1(VALU_DEP_2)
	v_fma_f64 v[46:47], v[60:61], s[0:1], v[46:47]
	v_add_f64 v[50:51], v[44:45], -v[38:39]
	v_add_f64 v[38:39], v[38:39], v[44:45]
	v_add_f64 v[44:45], v[108:109], -v[116:117]
	s_delay_alu instid0(VALU_DEP_4)
	v_add_f64 v[48:49], v[46:47], v[36:37]
	v_add_f64 v[36:37], v[36:37], -v[46:47]
	v_add_f64 v[46:47], v[198:199], -v[144:145]
	ds_store_2addr_b64 v149, v[48:49], v[50:51] offset0:14 offset1:21
	ds_store_2addr_b64 v149, v[38:39], v[36:37] offset0:28 offset1:35
	v_add_f64 v[36:37], v[28:29], v[0:1]
	v_add_f64 v[38:39], v[0:1], -v[30:31]
	v_add_f64 v[48:49], v[106:107], -v[162:163]
	;; [unrolled: 1-line block ×3, first 2 shown]
	v_add_f64 v[50:51], v[46:47], v[44:45]
	v_add_f64 v[0:1], v[28:29], -v[0:1]
	v_add_f64 v[106:107], v[106:107], v[162:163]
	v_add_f64 v[36:37], v[30:31], v[36:37]
	v_add_f64 v[30:31], v[30:31], -v[28:29]
	v_mul_f64 v[38:39], v[38:39], s[18:19]
	v_add_f64 v[46:47], v[48:49], -v[46:47]
	v_mul_f64 v[52:53], v[52:53], s[12:13]
	v_add_f64 v[50:51], v[50:51], v[48:49]
	v_add_f64 v[12:13], v[12:13], v[36:37]
	v_mul_f64 v[28:29], v[30:31], s[22:23]
	v_fma_f64 v[54:55], v[30:31], s[22:23], v[38:39]
	v_fma_f64 v[58:59], v[46:47], s[2:3], v[52:53]
	s_delay_alu instid0(VALU_DEP_4) | instskip(NEXT) | instid1(VALU_DEP_4)
	v_fma_f64 v[36:37], v[36:37], s[16:17], v[12:13]
	v_fma_f64 v[28:29], v[0:1], s[20:21], -v[28:29]
	v_fma_f64 v[0:1], v[0:1], s[24:25], -v[38:39]
	s_delay_alu instid0(VALU_DEP_4) | instskip(NEXT) | instid1(VALU_DEP_4)
	v_fma_f64 v[58:59], v[50:51], s[0:1], v[58:59]
	v_add_f64 v[54:55], v[54:55], v[36:37]
	s_delay_alu instid0(VALU_DEP_4) | instskip(NEXT) | instid1(VALU_DEP_4)
	v_add_f64 v[28:29], v[28:29], v[36:37]
	v_add_f64 v[0:1], v[0:1], v[36:37]
	s_delay_alu instid0(VALU_DEP_3) | instskip(SKIP_4) | instid1(VALU_DEP_3)
	v_add_f64 v[60:61], v[58:59], v[54:55]
	ds_store_2addr_b64 v223, v[12:13], v[60:61] offset1:7
	v_add_f64 v[12:13], v[44:45], -v[48:49]
	v_add_f64 v[44:45], v[178:179], -v[114:115]
	;; [unrolled: 1-line block ×3, first 2 shown]
	v_fma_f64 v[30:31], v[12:13], s[6:7], -v[52:53]
	v_mul_f64 v[12:13], v[12:13], s[6:7]
	s_delay_alu instid0(VALU_DEP_2) | instskip(NEXT) | instid1(VALU_DEP_2)
	v_fma_f64 v[30:31], v[50:51], s[0:1], v[30:31]
	v_fma_f64 v[12:13], v[46:47], s[14:15], -v[12:13]
	v_add_f64 v[46:47], v[126:127], -v[122:123]
	s_delay_alu instid0(VALU_DEP_3) | instskip(NEXT) | instid1(VALU_DEP_3)
	v_add_f64 v[36:37], v[28:29], -v[30:31]
	v_fma_f64 v[12:13], v[50:51], s[0:1], v[12:13]
	v_add_f64 v[28:29], v[30:31], v[28:29]
	s_delay_alu instid0(VALU_DEP_4)
	v_add_f64 v[52:53], v[46:47], -v[44:45]
	v_add_f64 v[50:51], v[46:47], v[44:45]
	v_add_f64 v[46:47], v[48:49], -v[46:47]
	v_add_f64 v[38:39], v[12:13], v[0:1]
	v_add_f64 v[0:1], v[0:1], -v[12:13]
	v_add_f64 v[12:13], v[142:143], v[138:139]
	v_mul_f64 v[52:53], v[52:53], s[12:13]
	v_add_f64 v[50:51], v[50:51], v[48:49]
	ds_store_2addr_b64 v223, v[38:39], v[36:37] offset0:14 offset1:21
	ds_store_2addr_b64 v223, v[28:29], v[0:1] offset0:28 offset1:35
	v_add_f64 v[0:1], v[54:55], -v[58:59]
	v_add_f64 v[28:29], v[132:133], v[252:253]
	v_fma_f64 v[58:59], v[46:47], s[2:3], v[52:53]
	ds_store_b64 v223, v[0:1] offset:336
	v_and_b32_e32 v0, 0xffff, v92
	v_lshlrev_b32_e32 v1, 3, v93
	scratch_load_b64 v[92:93], off, off offset:312 ; 8-byte Folded Reload
	v_fma_f64 v[58:59], v[50:51], s[0:1], v[58:59]
	v_mul_u32_u24_e32 v0, 0x188, v0
	s_delay_alu instid0(VALU_DEP_1) | instskip(SKIP_1) | instid1(VALU_DEP_1)
	v_add3_u32 v222, 0, v0, v1
	v_add_f64 v[0:1], v[136:137], v[140:141]
	v_add_f64 v[30:31], v[12:13], v[0:1]
	v_add_f64 v[36:37], v[0:1], -v[28:29]
	v_add_f64 v[0:1], v[12:13], -v[0:1]
	s_delay_alu instid0(VALU_DEP_3) | instskip(SKIP_1) | instid1(VALU_DEP_4)
	v_add_f64 v[30:31], v[28:29], v[30:31]
	v_add_f64 v[28:29], v[28:29], -v[12:13]
	v_mul_f64 v[36:37], v[36:37], s[18:19]
	v_add_f64 v[12:13], v[44:45], -v[48:49]
	v_add_f64 v[44:45], v[170:171], -v[84:85]
	v_add_f64 v[38:39], v[20:21], v[30:31]
	s_delay_alu instid0(VALU_DEP_4) | instskip(SKIP_1) | instid1(VALU_DEP_3)
	v_fma_f64 v[54:55], v[28:29], s[22:23], v[36:37]
	v_mul_f64 v[28:29], v[28:29], s[22:23]
	v_fma_f64 v[30:31], v[30:31], s[16:17], v[38:39]
	s_delay_alu instid0(VALU_DEP_2)
	v_fma_f64 v[28:29], v[0:1], s[20:21], -v[28:29]
	v_fma_f64 v[0:1], v[0:1], s[24:25], -v[36:37]
	;; [unrolled: 1-line block ×3, first 2 shown]
	v_mul_f64 v[12:13], v[12:13], s[6:7]
	v_add_f64 v[54:55], v[54:55], v[30:31]
	v_add_f64 v[28:29], v[28:29], v[30:31]
	;; [unrolled: 1-line block ×3, first 2 shown]
	v_fma_f64 v[30:31], v[50:51], s[0:1], v[36:37]
	v_fma_f64 v[12:13], v[46:47], s[14:15], -v[12:13]
	v_add_f64 v[60:61], v[58:59], v[54:55]
	s_delay_alu instid0(VALU_DEP_3) | instskip(NEXT) | instid1(VALU_DEP_3)
	v_add_f64 v[36:37], v[28:29], -v[30:31]
	v_fma_f64 v[12:13], v[50:51], s[0:1], v[12:13]
	v_add_f64 v[28:29], v[30:31], v[28:29]
	ds_store_2addr_b64 v222, v[38:39], v[60:61] offset1:7
	v_add_f64 v[38:39], v[12:13], v[0:1]
	v_add_f64 v[0:1], v[0:1], -v[12:13]
	v_add_f64 v[12:13], v[100:101], v[118:119]
	ds_store_2addr_b64 v222, v[38:39], v[36:37] offset0:14 offset1:21
	ds_store_2addr_b64 v222, v[28:29], v[0:1] offset0:28 offset1:35
	v_add_f64 v[0:1], v[54:55], -v[58:59]
	v_add_f64 v[28:29], v[200:201], v[102:103]
	v_add_f64 v[38:39], v[238:239], -v[98:99]
	s_waitcnt vmcnt(0)
	v_add_f64 v[46:47], v[92:93], -v[186:187]
	ds_store_b64 v222, v[0:1] offset:336
	v_and_b32_e32 v0, 0xffff, v80
	v_lshlrev_b32_e32 v1, 3, v81
	v_add_f64 v[50:51], v[44:45], -v[38:39]
	v_add_f64 v[48:49], v[44:45], v[38:39]
	v_add_f64 v[44:45], v[46:47], -v[44:45]
	v_mul_u32_u24_e32 v0, 0x188, v0
	v_add_f64 v[122:123], v[122:123], v[126:127]
	s_delay_alu instid0(VALU_DEP_2) | instskip(SKIP_3) | instid1(VALU_DEP_3)
	v_add3_u32 v227, 0, v0, v1
	v_add_f64 v[0:1], v[196:197], v[96:97]
	v_mul_f64 v[50:51], v[50:51], s[12:13]
	v_add_f64 v[48:49], v[48:49], v[46:47]
	v_add_f64 v[30:31], v[12:13], v[0:1]
	v_add_f64 v[36:37], v[0:1], -v[28:29]
	v_add_f64 v[0:1], v[12:13], -v[0:1]
	v_fma_f64 v[54:55], v[44:45], s[2:3], v[50:51]
	s_delay_alu instid0(VALU_DEP_4)
	v_add_f64 v[30:31], v[28:29], v[30:31]
	v_add_f64 v[28:29], v[28:29], -v[12:13]
	v_mul_f64 v[36:37], v[36:37], s[18:19]
	v_add_f64 v[12:13], v[38:39], -v[46:47]
	v_add_f64 v[38:39], v[26:27], -v[174:175]
	v_fma_f64 v[54:55], v[48:49], s[0:1], v[54:55]
	v_add_f64 v[20:21], v[176:177], v[30:31]
	v_add_f64 v[176:177], v[240:241], v[246:247]
	v_fma_f64 v[52:53], v[28:29], s[22:23], v[36:37]
	s_delay_alu instid0(VALU_DEP_3) | instskip(NEXT) | instid1(VALU_DEP_3)
	v_fma_f64 v[30:31], v[30:31], s[16:17], v[20:21]
	v_add_f64 v[6:7], v[176:177], -v[4:5]
	s_delay_alu instid0(VALU_DEP_2) | instskip(NEXT) | instid1(VALU_DEP_2)
	v_add_f64 v[52:53], v[52:53], v[30:31]
	v_mul_f64 v[240:241], v[6:7], s[18:19]
	s_delay_alu instid0(VALU_DEP_2) | instskip(SKIP_4) | instid1(VALU_DEP_3)
	v_add_f64 v[58:59], v[54:55], v[52:53]
	ds_store_2addr_b64 v227, v[20:21], v[58:59] offset1:7
	v_mul_f64 v[20:21], v[28:29], s[22:23]
	v_fma_f64 v[28:29], v[12:13], s[6:7], -v[50:51]
	v_mul_f64 v[12:13], v[12:13], s[6:7]
	v_fma_f64 v[20:21], v[0:1], s[20:21], -v[20:21]
	v_fma_f64 v[0:1], v[0:1], s[24:25], -v[36:37]
	s_delay_alu instid0(VALU_DEP_3) | instskip(SKIP_1) | instid1(VALU_DEP_4)
	v_fma_f64 v[12:13], v[44:45], s[14:15], -v[12:13]
	v_fma_f64 v[28:29], v[48:49], s[0:1], v[28:29]
	v_add_f64 v[20:21], v[20:21], v[30:31]
	s_delay_alu instid0(VALU_DEP_4) | instskip(NEXT) | instid1(VALU_DEP_4)
	v_add_f64 v[0:1], v[0:1], v[30:31]
	v_fma_f64 v[12:13], v[48:49], s[0:1], v[12:13]
	s_delay_alu instid0(VALU_DEP_3) | instskip(SKIP_1) | instid1(VALU_DEP_3)
	v_add_f64 v[30:31], v[20:21], -v[28:29]
	v_add_f64 v[20:21], v[28:29], v[20:21]
	v_add_f64 v[36:37], v[12:13], v[0:1]
	v_add_f64 v[0:1], v[0:1], -v[12:13]
	v_add_f64 v[12:13], v[188:189], v[34:35]
	ds_store_2addr_b64 v227, v[36:37], v[30:31] offset0:14 offset1:21
	ds_store_2addr_b64 v227, v[20:21], v[0:1] offset0:28 offset1:35
	v_add_f64 v[0:1], v[52:53], -v[54:55]
	v_add_f64 v[20:21], v[172:173], v[40:41]
	v_add_f64 v[36:37], v[236:237], -v[74:75]
	ds_store_b64 v227, v[0:1] offset:336
	s_clause 0x1
	scratch_load_b64 v[104:105], off, off offset:320
	scratch_load_b64 v[110:111], off, off offset:328
	v_and_b32_e32 v0, 0xffff, v68
	v_lshlrev_b32_e32 v1, 3, v69
	v_add_f64 v[48:49], v[38:39], -v[36:37]
	v_add_f64 v[46:47], v[38:39], v[36:37]
	scratch_load_b64 v[32:33], off, off offset:288 ; 8-byte Folded Reload
	v_mul_u32_u24_e32 v0, 0x188, v0
	s_clause 0x2
	scratch_load_b64 v[14:15], off, off offset:248
	scratch_load_b64 v[214:215], off, off offset:344
	;; [unrolled: 1-line block ×3, first 2 shown]
	v_add3_u32 v226, 0, v0, v1
	v_add_f64 v[0:1], v[120:121], v[182:183]
	v_mul_f64 v[48:49], v[48:49], s[12:13]
	s_delay_alu instid0(VALU_DEP_2) | instskip(SKIP_2) | instid1(VALU_DEP_3)
	v_add_f64 v[28:29], v[12:13], v[0:1]
	v_add_f64 v[30:31], v[0:1], -v[20:21]
	v_add_f64 v[0:1], v[12:13], -v[0:1]
	v_add_f64 v[28:29], v[20:21], v[28:29]
	v_add_f64 v[20:21], v[20:21], -v[12:13]
	s_delay_alu instid0(VALU_DEP_4) | instskip(NEXT) | instid1(VALU_DEP_3)
	v_mul_f64 v[30:31], v[30:31], s[18:19]
	v_add_f64 v[16:17], v[212:213], v[28:29]
	scratch_load_b64 v[212:213], off, off offset:240 ; 8-byte Folded Reload
	v_fma_f64 v[50:51], v[20:21], s[22:23], v[30:31]
	v_fma_f64 v[28:29], v[28:29], s[16:17], v[16:17]
	s_delay_alu instid0(VALU_DEP_1) | instskip(SKIP_2) | instid1(VALU_DEP_1)
	v_add_f64 v[50:51], v[50:51], v[28:29]
	s_waitcnt vmcnt(5)
	v_add_f64 v[44:45], v[110:111], -v[104:105]
	v_add_f64 v[38:39], v[44:45], -v[38:39]
	v_add_f64 v[46:47], v[46:47], v[44:45]
	v_add_f64 v[12:13], v[36:37], -v[44:45]
	v_add_f64 v[36:37], v[10:11], -v[124:125]
	s_delay_alu instid0(VALU_DEP_4) | instskip(NEXT) | instid1(VALU_DEP_1)
	v_fma_f64 v[52:53], v[38:39], s[2:3], v[48:49]
	v_fma_f64 v[52:53], v[46:47], s[0:1], v[52:53]
	s_delay_alu instid0(VALU_DEP_1) | instskip(SKIP_4) | instid1(VALU_DEP_3)
	v_add_f64 v[54:55], v[52:53], v[50:51]
	ds_store_2addr_b64 v226, v[16:17], v[54:55] offset1:7
	v_mul_f64 v[16:17], v[20:21], s[22:23]
	v_fma_f64 v[20:21], v[12:13], s[6:7], -v[48:49]
	v_mul_f64 v[12:13], v[12:13], s[6:7]
	v_fma_f64 v[16:17], v[0:1], s[20:21], -v[16:17]
	v_fma_f64 v[0:1], v[0:1], s[24:25], -v[30:31]
	s_delay_alu instid0(VALU_DEP_3) | instskip(SKIP_1) | instid1(VALU_DEP_4)
	v_fma_f64 v[12:13], v[38:39], s[14:15], -v[12:13]
	v_fma_f64 v[20:21], v[46:47], s[0:1], v[20:21]
	v_add_f64 v[16:17], v[16:17], v[28:29]
	s_delay_alu instid0(VALU_DEP_4) | instskip(NEXT) | instid1(VALU_DEP_4)
	v_add_f64 v[0:1], v[0:1], v[28:29]
	v_fma_f64 v[12:13], v[46:47], s[0:1], v[12:13]
	s_delay_alu instid0(VALU_DEP_3) | instskip(SKIP_1) | instid1(VALU_DEP_3)
	v_add_f64 v[28:29], v[16:17], -v[20:21]
	v_add_f64 v[16:17], v[20:21], v[16:17]
	v_add_f64 v[30:31], v[12:13], v[0:1]
	v_add_f64 v[0:1], v[0:1], -v[12:13]
	v_add_f64 v[12:13], v[22:23], v[180:181]
	ds_store_2addr_b64 v226, v[30:31], v[28:29] offset0:14 offset1:21
	ds_store_2addr_b64 v226, v[16:17], v[0:1] offset0:28 offset1:35
	v_add_f64 v[0:1], v[50:51], -v[52:53]
	s_waitcnt vmcnt(4)
	v_add_f64 v[16:17], v[32:33], v[190:191]
	ds_store_b64 v226, v[0:1] offset:336
	v_lshlrev_b32_e32 v1, 3, v8
	scratch_load_b64 v[8:9], off, off offset:80 ; 8-byte Folded Reload
	v_and_b32_e32 v0, 0xffff, v216
	s_delay_alu instid0(VALU_DEP_1) | instskip(NEXT) | instid1(VALU_DEP_1)
	v_mul_u32_u24_e32 v0, 0x188, v0
	v_add3_u32 v235, 0, v0, v1
	s_waitcnt vmcnt(1)
	v_add_f64 v[0:1], v[212:213], v[24:25]
	s_delay_alu instid0(VALU_DEP_1) | instskip(SKIP_2) | instid1(VALU_DEP_3)
	v_add_f64 v[20:21], v[12:13], v[0:1]
	v_add_f64 v[28:29], v[0:1], -v[16:17]
	v_add_f64 v[0:1], v[12:13], -v[0:1]
	v_add_f64 v[20:21], v[16:17], v[20:21]
	v_add_f64 v[16:17], v[16:17], -v[12:13]
	s_delay_alu instid0(VALU_DEP_4) | instskip(NEXT) | instid1(VALU_DEP_1)
	v_mul_f64 v[28:29], v[28:29], s[18:19]
	v_fma_f64 v[50:51], v[16:17], s[22:23], v[28:29]
	v_mul_f64 v[16:17], v[16:17], s[22:23]
	s_delay_alu instid0(VALU_DEP_1)
	v_fma_f64 v[16:17], v[0:1], s[20:21], -v[16:17]
	v_fma_f64 v[0:1], v[0:1], s[24:25], -v[28:29]
	s_waitcnt vmcnt(0)
	v_add_f64 v[30:31], v[8:9], v[20:21]
	scratch_load_b64 v[8:9], off, off offset:192 ; 8-byte Folded Reload
	v_add_f64 v[38:39], v[192:193], -v[14:15]
	v_fma_f64 v[20:21], v[20:21], s[16:17], v[30:31]
	s_delay_alu instid0(VALU_DEP_2) | instskip(SKIP_1) | instid1(VALU_DEP_3)
	v_add_f64 v[48:49], v[38:39], -v[36:37]
	v_add_f64 v[46:47], v[38:39], v[36:37]
	v_add_f64 v[50:51], v[50:51], v[20:21]
	;; [unrolled: 1-line block ×3, first 2 shown]
	s_delay_alu instid0(VALU_DEP_4) | instskip(SKIP_3) | instid1(VALU_DEP_1)
	v_mul_f64 v[48:49], v[48:49], s[12:13]
	v_add_f64 v[0:1], v[0:1], v[20:21]
	s_waitcnt vmcnt(0)
	v_add_f64 v[44:45], v[8:9], -v[72:73]
	v_add_f64 v[38:39], v[44:45], -v[38:39]
	v_add_f64 v[46:47], v[46:47], v[44:45]
	v_add_f64 v[12:13], v[36:37], -v[44:45]
	v_add_f64 v[36:37], v[164:165], -v[88:89]
	s_delay_alu instid0(VALU_DEP_4) | instskip(NEXT) | instid1(VALU_DEP_3)
	v_fma_f64 v[52:53], v[38:39], s[2:3], v[48:49]
	v_fma_f64 v[28:29], v[12:13], s[6:7], -v[48:49]
	v_mul_f64 v[12:13], v[12:13], s[6:7]
	s_delay_alu instid0(VALU_DEP_3) | instskip(NEXT) | instid1(VALU_DEP_3)
	v_fma_f64 v[52:53], v[46:47], s[0:1], v[52:53]
	v_fma_f64 v[20:21], v[46:47], s[0:1], v[28:29]
	s_delay_alu instid0(VALU_DEP_3) | instskip(SKIP_1) | instid1(VALU_DEP_4)
	v_fma_f64 v[12:13], v[38:39], s[14:15], -v[12:13]
	v_add_f64 v[38:39], v[90:91], -v[94:95]
	v_add_f64 v[54:55], v[52:53], v[50:51]
	s_delay_alu instid0(VALU_DEP_4) | instskip(NEXT) | instid1(VALU_DEP_4)
	v_add_f64 v[28:29], v[16:17], -v[20:21]
	v_fma_f64 v[12:13], v[46:47], s[0:1], v[12:13]
	v_add_f64 v[16:17], v[20:21], v[16:17]
	v_add_f64 v[46:47], v[38:39], -v[36:37]
	v_add_f64 v[44:45], v[38:39], v[36:37]
	ds_store_2addr_b64 v235, v[30:31], v[54:55] offset1:7
	scratch_load_b64 v[54:55], off, off offset:296 ; 8-byte Folded Reload
	v_add_f64 v[30:31], v[12:13], v[0:1]
	v_add_f64 v[0:1], v[0:1], -v[12:13]
	v_add_f64 v[12:13], v[166:167], v[134:135]
	v_mul_f64 v[46:47], v[46:47], s[12:13]
	ds_store_2addr_b64 v235, v[30:31], v[28:29] offset0:14 offset1:21
	ds_store_2addr_b64 v235, v[16:17], v[0:1] offset0:28 offset1:35
	v_add_f64 v[0:1], v[50:51], -v[52:53]
	v_add_f64 v[16:17], v[184:185], v[160:161]
	ds_store_b64 v235, v[0:1] offset:336
	v_and_b32_e32 v0, 0xffff, v42
	v_lshlrev_b32_e32 v1, 3, v43
	s_delay_alu instid0(VALU_DEP_2) | instskip(NEXT) | instid1(VALU_DEP_1)
	v_mul_u32_u24_e32 v0, 0x188, v0
	v_add3_u32 v234, 0, v0, v1
	v_add_f64 v[0:1], v[214:215], v[146:147]
	s_delay_alu instid0(VALU_DEP_1) | instskip(SKIP_2) | instid1(VALU_DEP_3)
	v_add_f64 v[20:21], v[12:13], v[0:1]
	v_add_f64 v[28:29], v[0:1], -v[16:17]
	v_add_f64 v[0:1], v[12:13], -v[0:1]
	v_add_f64 v[20:21], v[16:17], v[20:21]
	v_add_f64 v[16:17], v[16:17], -v[12:13]
	s_delay_alu instid0(VALU_DEP_4) | instskip(NEXT) | instid1(VALU_DEP_3)
	v_mul_f64 v[28:29], v[28:29], s[18:19]
	v_add_f64 v[30:31], v[18:19], v[20:21]
	v_dual_mov_b32 v18, v206 :: v_dual_mov_b32 v19, v207
	s_delay_alu instid0(VALU_DEP_3) | instskip(SKIP_4) | instid1(VALU_DEP_4)
	v_fma_f64 v[48:49], v[16:17], s[22:23], v[28:29]
	v_mul_f64 v[16:17], v[16:17], s[22:23]
	v_add_f64 v[206:207], v[76:77], -v[154:155]
	v_add_f64 v[154:155], v[4:5], -v[202:203]
	v_fma_f64 v[20:21], v[20:21], s[16:17], v[30:31]
	v_fma_f64 v[16:17], v[0:1], s[20:21], -v[16:17]
	v_fma_f64 v[0:1], v[0:1], s[24:25], -v[28:29]
	v_add_f64 v[6:7], v[2:3], -v[206:207]
	s_delay_alu instid0(VALU_DEP_4) | instskip(NEXT) | instid1(VALU_DEP_4)
	v_add_f64 v[48:49], v[48:49], v[20:21]
	v_add_f64 v[16:17], v[16:17], v[20:21]
	s_delay_alu instid0(VALU_DEP_4) | instskip(NEXT) | instid1(VALU_DEP_4)
	v_add_f64 v[0:1], v[0:1], v[20:21]
	v_mul_f64 v[224:225], v[6:7], s[12:13]
	v_dual_mov_b32 v7, v228 :: v_dual_add_nc_u32 v6, 0x2c00, v254
	s_waitcnt vmcnt(0)
	v_add_f64 v[42:43], v[54:55], -v[18:19]
	s_delay_alu instid0(VALU_DEP_1) | instskip(SKIP_3) | instid1(VALU_DEP_4)
	v_add_f64 v[38:39], v[42:43], -v[38:39]
	v_add_f64 v[12:13], v[36:37], -v[42:43]
	v_add_f64 v[44:45], v[44:45], v[42:43]
	v_mov_b32_e32 v42, v233
	v_fma_f64 v[50:51], v[38:39], s[2:3], v[46:47]
	s_delay_alu instid0(VALU_DEP_4) | instskip(SKIP_1) | instid1(VALU_DEP_3)
	v_fma_f64 v[28:29], v[12:13], s[6:7], -v[46:47]
	v_mul_f64 v[12:13], v[12:13], s[6:7]
	v_fma_f64 v[50:51], v[44:45], s[0:1], v[50:51]
	s_delay_alu instid0(VALU_DEP_3) | instskip(NEXT) | instid1(VALU_DEP_3)
	v_fma_f64 v[20:21], v[44:45], s[0:1], v[28:29]
	v_fma_f64 v[12:13], v[38:39], s[14:15], -v[12:13]
	s_delay_alu instid0(VALU_DEP_3) | instskip(NEXT) | instid1(VALU_DEP_3)
	v_add_f64 v[52:53], v[50:51], v[48:49]
	v_add_f64 v[28:29], v[16:17], -v[20:21]
	s_delay_alu instid0(VALU_DEP_3)
	v_fma_f64 v[12:13], v[44:45], s[0:1], v[12:13]
	v_add_f64 v[16:17], v[20:21], v[16:17]
	v_dual_mov_b32 v20, v251 :: v_dual_mov_b32 v21, v210
	ds_store_2addr_b64 v234, v[30:31], v[52:53] offset1:7
	v_add_f64 v[30:31], v[12:13], v[0:1]
	v_add_f64 v[0:1], v[0:1], -v[12:13]
	v_dual_mov_b32 v13, v249 :: v_dual_mov_b32 v12, v250
	ds_store_2addr_b64 v234, v[30:31], v[28:29] offset0:14 offset1:21
	ds_store_2addr_b64 v234, v[16:17], v[0:1] offset0:28 offset1:35
	v_add_f64 v[0:1], v[48:49], -v[50:51]
	v_mov_b32_e32 v16, v248
	v_add_f64 v[248:249], v[204:205], -v[2:3]
	ds_store_b64 v234, v[0:1] offset:336
	v_add_f64 v[0:1], v[202:203], v[176:177]
	s_waitcnt lgkmcnt(0)
	s_barrier
	buffer_gl0_inv
	v_add_f64 v[0:1], v[4:5], v[0:1]
	v_add_f64 v[4:5], v[2:3], v[206:207]
	s_delay_alu instid0(VALU_DEP_2) | instskip(NEXT) | instid1(VALU_DEP_2)
	v_add_f64 v[242:243], v[244:245], v[0:1]
	v_add_f64 v[250:251], v[4:5], v[204:205]
	v_mov_b32_e32 v5, v211
	s_delay_alu instid0(VALU_DEP_3) | instskip(SKIP_2) | instid1(VALU_DEP_2)
	v_fma_f64 v[216:217], v[0:1], s[16:17], v[242:243]
	v_fma_f64 v[0:1], v[154:155], s[22:23], v[240:241]
	v_mul_f64 v[154:155], v[154:155], s[22:23]
	v_add_f64 v[218:219], v[0:1], v[216:217]
	v_fma_f64 v[0:1], v[248:249], s[2:3], v[224:225]
	s_delay_alu instid0(VALU_DEP_1)
	v_fma_f64 v[220:221], v[250:251], s[0:1], v[0:1]
	ds_load_b64 v[0:1], v254
	s_waitcnt lgkmcnt(0)
	scratch_store_b64 off, v[0:1], off offset:128 ; 8-byte Folded Spill
	ds_load_b64 v[0:1], v57
	s_waitcnt lgkmcnt(0)
	scratch_store_b64 off, v[0:1], off offset:112 ; 8-byte Folded Spill
	;; [unrolled: 3-line block ×7, first 2 shown]
	ds_load_2addr_b64 v[80:83], v208 offset0:87 offset1:136
	ds_load_2addr_b64 v[0:3], v233 offset0:125 offset1:174
	s_waitcnt lgkmcnt(0)
	scratch_store_b128 off, v[0:3], off offset:376 ; 16-byte Folded Spill
	ds_load_2addr_b64 v[76:79], v255 offset0:5 offset1:54
	ds_load_2addr_b64 v[0:3], v210 offset0:43 offset1:92
	s_waitcnt lgkmcnt(0)
	scratch_store_b128 off, v[0:3], off offset:200 ; 16-byte Folded Spill
	ds_load_2addr_b64 v[1:4], v209 offset0:179 offset1:228
	ds_load_2addr_b64 v[28:31], v128 offset0:89 offset1:138
	v_mov_b32_e32 v0, v230
	s_waitcnt lgkmcnt(0)
	scratch_store_b128 off, v[28:31], off offset:160 ; 16-byte Folded Spill
	ds_load_2addr_b64 v[28:31], v148 offset0:95 offset1:144
	s_waitcnt lgkmcnt(0)
	scratch_store_b128 off, v[28:31], off offset:392 ; 16-byte Folded Spill
	ds_load_2addr_b64 v[28:31], v210 offset0:141 offset1:190
	s_waitcnt lgkmcnt(0)
	scratch_store_b128 off, v[28:31], off offset:264 ; 16-byte Folded Spill
	ds_load_2addr_b64 v[28:31], v211 offset0:59 offset1:108
	s_waitcnt lgkmcnt(0)
	scratch_store_b128 off, v[28:31], off offset:176 ; 16-byte Folded Spill
	ds_load_2addr_b64 v[68:71], v208 offset0:185 offset1:234
	ds_load_2addr_b64 v[64:67], v255 offset0:103 offset1:152
	ds_load_2addr_b64 v[60:63], v228 offset0:21 offset1:70
	;; [unrolled: 1-line block ×9, first 2 shown]
	v_mov_b32_e32 v233, v129
	s_waitcnt lgkmcnt(0)
	scratch_store_b128 off, v[228:231], off offset:360 ; 16-byte Folded Spill
	ds_load_2addr_b64 v[228:231], v209 offset0:81 offset1:130
	s_waitcnt lgkmcnt(0)
	scratch_store_b128 off, v[228:231], off offset:216 ; 16-byte Folded Spill
	ds_load_2addr_b64 v[228:231], v129 offset0:127 offset1:176
	v_add_f64 v[128:129], v[218:219], -v[220:221]
	s_waitcnt lgkmcnt(0)
	scratch_store_b128 off, v[228:231], off offset:144 ; 16-byte Folded Spill
	s_waitcnt_vscnt null, 0x0
	s_barrier
	buffer_gl0_inv
	scratch_load_b64 v[52:53], off, off offset:440 ; 8-byte Folded Reload
	ds_store_2addr_b64 v149, v[242:243], v[128:129] offset1:7
	v_add_f64 v[128:129], v[202:203], -v[176:177]
	v_add_f64 v[176:177], v[206:207], -v[204:205]
	s_delay_alu instid0(VALU_DEP_2) | instskip(NEXT) | instid1(VALU_DEP_2)
	v_fma_f64 v[154:155], v[128:129], s[20:21], -v[154:155]
	v_fma_f64 v[202:203], v[176:177], s[6:7], -v[224:225]
	v_mul_f64 v[176:177], v[176:177], s[6:7]
	v_fma_f64 v[128:129], v[128:129], s[24:25], -v[240:241]
	s_delay_alu instid0(VALU_DEP_4) | instskip(NEXT) | instid1(VALU_DEP_4)
	v_add_f64 v[154:155], v[154:155], v[216:217]
	v_fma_f64 v[202:203], v[250:251], s[0:1], v[202:203]
	s_delay_alu instid0(VALU_DEP_4) | instskip(NEXT) | instid1(VALU_DEP_4)
	v_fma_f64 v[176:177], v[248:249], s[14:15], -v[176:177]
	v_add_f64 v[128:129], v[128:129], v[216:217]
	s_delay_alu instid0(VALU_DEP_3) | instskip(NEXT) | instid1(VALU_DEP_3)
	v_add_f64 v[204:205], v[202:203], v[154:155]
	v_fma_f64 v[176:177], v[250:251], s[0:1], v[176:177]
	v_add_f64 v[154:155], v[154:155], -v[202:203]
	s_delay_alu instid0(VALU_DEP_2)
	v_add_f64 v[206:207], v[128:129], -v[176:177]
	v_add_f64 v[128:129], v[176:177], v[128:129]
	ds_store_2addr_b64 v149, v[206:207], v[204:205] offset0:14 offset1:21
	ds_store_2addr_b64 v149, v[154:155], v[128:129] offset0:28 offset1:35
	v_add_f64 v[128:129], v[220:221], v[218:219]
	v_add_f64 v[154:155], v[144:145], v[198:199]
	ds_store_b64 v149, v[128:129] offset:336
	v_add_f64 v[128:129], v[108:109], v[116:117]
	v_add_f64 v[148:149], v[150:151], -v[158:159]
	v_add_f64 v[116:117], v[152:153], -v[194:195]
	v_add_f64 v[162:163], v[106:107], -v[154:155]
	s_delay_alu instid0(VALU_DEP_4) | instskip(NEXT) | instid1(VALU_DEP_4)
	v_add_f64 v[158:159], v[128:129], v[106:107]
	v_add_f64 v[176:177], v[148:149], -v[130:131]
	v_add_f64 v[106:107], v[128:129], -v[106:107]
	s_delay_alu instid0(VALU_DEP_4) | instskip(NEXT) | instid1(VALU_DEP_4)
	v_mul_f64 v[162:163], v[162:163], s[18:19]
	v_add_f64 v[158:159], v[154:155], v[158:159]
	v_add_f64 v[154:155], v[154:155], -v[128:129]
	v_mul_f64 v[176:177], v[176:177], s[12:13]
	s_delay_alu instid0(VALU_DEP_3) | instskip(SKIP_3) | instid1(VALU_DEP_4)
	v_add_f64 v[108:109], v[168:169], v[158:159]
	v_add_f64 v[168:169], v[148:149], v[130:131]
	v_add_f64 v[148:149], v[116:117], -v[148:149]
	v_fma_f64 v[194:195], v[154:155], s[22:23], v[162:163]
	v_fma_f64 v[158:159], v[158:159], s[16:17], v[108:109]
	s_delay_alu instid0(VALU_DEP_4) | instskip(NEXT) | instid1(VALU_DEP_4)
	v_add_f64 v[168:169], v[168:169], v[116:117]
	v_fma_f64 v[198:199], v[148:149], s[2:3], v[176:177]
	s_delay_alu instid0(VALU_DEP_3) | instskip(NEXT) | instid1(VALU_DEP_2)
	v_add_f64 v[194:195], v[194:195], v[158:159]
	v_fma_f64 v[198:199], v[168:169], s[0:1], v[198:199]
	s_delay_alu instid0(VALU_DEP_1) | instskip(SKIP_3) | instid1(VALU_DEP_2)
	v_add_f64 v[202:203], v[194:195], -v[198:199]
	ds_store_2addr_b64 v223, v[108:109], v[202:203] offset1:7
	v_add_f64 v[108:109], v[130:131], -v[116:117]
	v_mul_f64 v[116:117], v[154:155], s[22:23]
	v_fma_f64 v[128:129], v[108:109], s[6:7], -v[176:177]
	v_mul_f64 v[108:109], v[108:109], s[6:7]
	s_delay_alu instid0(VALU_DEP_3) | instskip(SKIP_1) | instid1(VALU_DEP_4)
	v_fma_f64 v[116:117], v[106:107], s[20:21], -v[116:117]
	v_fma_f64 v[106:107], v[106:107], s[24:25], -v[162:163]
	v_fma_f64 v[128:129], v[168:169], s[0:1], v[128:129]
	s_delay_alu instid0(VALU_DEP_4) | instskip(NEXT) | instid1(VALU_DEP_4)
	v_fma_f64 v[108:109], v[148:149], s[14:15], -v[108:109]
	v_add_f64 v[116:117], v[116:117], v[158:159]
	s_delay_alu instid0(VALU_DEP_4) | instskip(NEXT) | instid1(VALU_DEP_3)
	v_add_f64 v[106:107], v[106:107], v[158:159]
	v_fma_f64 v[108:109], v[168:169], s[0:1], v[108:109]
	s_delay_alu instid0(VALU_DEP_3) | instskip(SKIP_2) | instid1(VALU_DEP_4)
	v_add_f64 v[130:131], v[128:129], v[116:117]
	v_add_f64 v[116:117], v[116:117], -v[128:129]
	v_add_f64 v[128:129], v[252:253], -v[132:133]
	;; [unrolled: 1-line block ×3, first 2 shown]
	v_add_f64 v[106:107], v[108:109], v[106:107]
	v_add_f64 v[108:109], v[178:179], v[114:115]
	v_add_f64 v[114:115], v[142:143], -v[138:139]
	ds_store_2addr_b64 v223, v[148:149], v[130:131] offset0:14 offset1:21
	ds_store_2addr_b64 v223, v[116:117], v[106:107] offset0:28 offset1:35
	v_add_f64 v[106:107], v[198:199], v[194:195]
	v_add_f64 v[116:117], v[136:137], -v[140:141]
	v_add_f64 v[154:155], v[128:129], -v[114:115]
	v_add_f64 v[152:153], v[128:129], v[114:115]
	ds_store_b64 v223, v[106:107] offset:336
	v_add_f64 v[106:107], v[112:113], v[86:87]
	v_mul_f64 v[154:155], v[154:155], s[12:13]
	v_add_f64 v[128:129], v[116:117], -v[128:129]
	v_add_f64 v[152:153], v[152:153], v[116:117]
	v_add_f64 v[86:87], v[14:15], v[192:193]
	;; [unrolled: 1-line block ×3, first 2 shown]
	v_add_f64 v[136:137], v[106:107], -v[122:123]
	v_add_f64 v[106:107], v[108:109], -v[106:107]
	v_fma_f64 v[158:159], v[128:129], s[2:3], v[154:155]
	s_delay_alu instid0(VALU_DEP_4)
	v_add_f64 v[130:131], v[122:123], v[130:131]
	v_add_f64 v[122:123], v[122:123], -v[108:109]
	v_add_f64 v[108:109], v[114:115], -v[116:117]
	v_mul_f64 v[136:137], v[136:137], s[18:19]
	v_fma_f64 v[158:159], v[152:153], s[0:1], v[158:159]
	s_waitcnt vmcnt(0)
	v_add_f64 v[148:149], v[52:53], v[130:131]
	scratch_load_b64 v[52:53], off, off offset:432 ; 8-byte Folded Reload
	v_mul_f64 v[114:115], v[122:123], s[22:23]
	v_fma_f64 v[116:117], v[108:109], s[6:7], -v[154:155]
	v_mul_f64 v[108:109], v[108:109], s[6:7]
	v_fma_f64 v[156:157], v[122:123], s[22:23], v[136:137]
	v_fma_f64 v[130:131], v[130:131], s[16:17], v[148:149]
	v_fma_f64 v[114:115], v[106:107], s[20:21], -v[114:115]
	v_fma_f64 v[106:107], v[106:107], s[24:25], -v[136:137]
	;; [unrolled: 1-line block ×3, first 2 shown]
	v_fma_f64 v[116:117], v[152:153], s[0:1], v[116:117]
	v_add_f64 v[156:157], v[156:157], v[130:131]
	v_add_f64 v[114:115], v[114:115], v[130:131]
	;; [unrolled: 1-line block ×3, first 2 shown]
	v_fma_f64 v[108:109], v[152:153], s[0:1], v[108:109]
	s_delay_alu instid0(VALU_DEP_4) | instskip(NEXT) | instid1(VALU_DEP_4)
	v_add_f64 v[162:163], v[156:157], -v[158:159]
	v_add_f64 v[122:123], v[116:117], v[114:115]
	v_add_f64 v[114:115], v[114:115], -v[116:117]
	s_delay_alu instid0(VALU_DEP_4)
	v_add_f64 v[128:129], v[106:107], -v[108:109]
	v_add_f64 v[106:107], v[108:109], v[106:107]
	v_add_f64 v[108:109], v[238:239], v[98:99]
	v_add_f64 v[116:117], v[100:101], -v[118:119]
	v_add_f64 v[118:119], v[102:103], -v[200:201]
	v_add_f64 v[102:103], v[10:11], v[124:125]
	v_add_f64 v[100:101], v[190:191], -v[32:33]
	v_mov_b32_e32 v239, v233
	ds_store_2addr_b64 v222, v[148:149], v[162:163] offset1:7
	ds_store_2addr_b64 v222, v[128:129], v[122:123] offset0:14 offset1:21
	ds_store_2addr_b64 v222, v[114:115], v[106:107] offset0:28 offset1:35
	v_add_f64 v[106:107], v[158:159], v[156:157]
	v_add_f64 v[114:115], v[196:197], -v[96:97]
	v_add_f64 v[122:123], v[84:85], v[170:171]
	v_mov_b32_e32 v171, v208
	v_add_f64 v[140:141], v[118:119], -v[116:117]
	v_add_f64 v[138:139], v[118:119], v[116:117]
	v_mov_b32_e32 v17, v0
	scratch_load_b32 v0, off, off offset:20 ; 4-byte Folded Reload
	ds_store_b64 v222, v[106:107] offset:336
	v_add_f64 v[106:107], v[92:93], v[186:187]
	v_add_f64 v[118:119], v[114:115], -v[118:119]
	v_mul_f64 v[140:141], v[140:141], s[12:13]
	v_add_f64 v[138:139], v[138:139], v[114:115]
	s_delay_alu instid0(VALU_DEP_4) | instskip(SKIP_3) | instid1(VALU_DEP_4)
	v_add_f64 v[128:129], v[108:109], v[106:107]
	v_add_f64 v[130:131], v[106:107], -v[122:123]
	v_add_f64 v[106:107], v[108:109], -v[106:107]
	v_fma_f64 v[150:151], v[118:119], s[2:3], v[140:141]
	v_add_f64 v[128:129], v[122:123], v[128:129]
	v_add_f64 v[122:123], v[122:123], -v[108:109]
	v_add_f64 v[108:109], v[116:117], -v[114:115]
	v_mul_f64 v[130:131], v[130:131], s[18:19]
	v_fma_f64 v[150:151], v[138:139], s[0:1], v[150:151]
	s_delay_alu instid0(VALU_DEP_4) | instskip(NEXT) | instid1(VALU_DEP_4)
	v_mul_f64 v[114:115], v[122:123], s[22:23]
	v_fma_f64 v[116:117], v[108:109], s[6:7], -v[140:141]
	v_mul_f64 v[108:109], v[108:109], s[6:7]
	v_fma_f64 v[148:149], v[122:123], s[22:23], v[130:131]
	s_waitcnt vmcnt(1)
	v_add_f64 v[136:137], v[52:53], v[128:129]
	v_fma_f64 v[114:115], v[106:107], s[20:21], -v[114:115]
	v_fma_f64 v[106:107], v[106:107], s[24:25], -v[130:131]
	;; [unrolled: 1-line block ×3, first 2 shown]
	v_fma_f64 v[116:117], v[138:139], s[0:1], v[116:117]
	v_fma_f64 v[128:129], v[128:129], s[16:17], v[136:137]
	s_delay_alu instid0(VALU_DEP_3) | instskip(NEXT) | instid1(VALU_DEP_2)
	v_fma_f64 v[108:109], v[138:139], s[0:1], v[108:109]
	v_add_f64 v[114:115], v[114:115], v[128:129]
	v_add_f64 v[106:107], v[106:107], v[128:129]
	;; [unrolled: 1-line block ×3, first 2 shown]
	s_delay_alu instid0(VALU_DEP_3) | instskip(NEXT) | instid1(VALU_DEP_3)
	v_add_f64 v[118:119], v[116:117], v[114:115]
	v_add_f64 v[122:123], v[106:107], -v[108:109]
	v_add_f64 v[114:115], v[114:115], -v[116:117]
	v_add_f64 v[106:107], v[108:109], v[106:107]
	v_add_f64 v[108:109], v[236:237], v[74:75]
	v_add_f64 v[116:117], v[188:189], -v[34:35]
	v_add_f64 v[152:153], v[148:149], -v[150:151]
	ds_store_2addr_b64 v227, v[122:123], v[118:119] offset0:14 offset1:21
	v_add_f64 v[122:123], v[174:175], v[26:27]
	scratch_load_b64 v[26:27], off, off offset:424 ; 8-byte Folded Reload
	ds_store_2addr_b64 v227, v[114:115], v[106:107] offset0:28 offset1:35
	v_add_f64 v[106:107], v[150:151], v[148:149]
	v_add_f64 v[118:119], v[40:41], -v[172:173]
	v_add_f64 v[114:115], v[120:121], -v[182:183]
	ds_store_2addr_b64 v227, v[136:137], v[152:153] offset1:7
	ds_store_b64 v227, v[106:107] offset:336
	v_add_f64 v[106:107], v[110:111], v[104:105]
	v_add_f64 v[138:139], v[118:119], -v[116:117]
	v_add_f64 v[136:137], v[118:119], v[116:117]
	v_add_f64 v[118:119], v[114:115], -v[118:119]
	v_add_f64 v[104:105], v[160:161], -v[184:185]
	v_add_f64 v[128:129], v[108:109], v[106:107]
	v_add_f64 v[130:131], v[106:107], -v[122:123]
	v_mul_f64 v[138:139], v[138:139], s[12:13]
	v_add_f64 v[136:137], v[136:137], v[114:115]
	s_delay_alu instid0(VALU_DEP_4) | instskip(SKIP_3) | instid1(VALU_DEP_2)
	v_add_f64 v[128:129], v[122:123], v[128:129]
	v_add_f64 v[122:123], v[122:123], -v[108:109]
	v_mul_f64 v[130:131], v[130:131], s[18:19]
	v_fma_f64 v[142:143], v[118:119], s[2:3], v[138:139]
	v_fma_f64 v[140:141], v[122:123], s[22:23], v[130:131]
	s_delay_alu instid0(VALU_DEP_2) | instskip(SKIP_2) | instid1(VALU_DEP_1)
	v_fma_f64 v[142:143], v[136:137], s[0:1], v[142:143]
	s_waitcnt vmcnt(0)
	v_add_f64 v[84:85], v[26:27], v[128:129]
	v_fma_f64 v[128:129], v[128:129], s[16:17], v[84:85]
	s_delay_alu instid0(VALU_DEP_1) | instskip(NEXT) | instid1(VALU_DEP_1)
	v_add_f64 v[140:141], v[140:141], v[128:129]
	v_add_f64 v[144:145], v[140:141], -v[142:143]
	ds_store_2addr_b64 v226, v[84:85], v[144:145] offset1:7
	v_add_f64 v[84:85], v[108:109], -v[106:107]
	v_add_f64 v[106:107], v[116:117], -v[114:115]
	v_mul_f64 v[108:109], v[122:123], s[22:23]
	s_delay_alu instid0(VALU_DEP_2) | instskip(SKIP_1) | instid1(VALU_DEP_3)
	v_fma_f64 v[114:115], v[106:107], s[6:7], -v[138:139]
	v_mul_f64 v[106:107], v[106:107], s[6:7]
	v_fma_f64 v[108:109], v[84:85], s[20:21], -v[108:109]
	v_fma_f64 v[84:85], v[84:85], s[24:25], -v[130:131]
	s_delay_alu instid0(VALU_DEP_4) | instskip(NEXT) | instid1(VALU_DEP_4)
	v_fma_f64 v[114:115], v[136:137], s[0:1], v[114:115]
	v_fma_f64 v[106:107], v[118:119], s[14:15], -v[106:107]
	s_delay_alu instid0(VALU_DEP_4) | instskip(NEXT) | instid1(VALU_DEP_4)
	v_add_f64 v[108:109], v[108:109], v[128:129]
	v_add_f64 v[84:85], v[84:85], v[128:129]
	s_delay_alu instid0(VALU_DEP_3) | instskip(NEXT) | instid1(VALU_DEP_3)
	v_fma_f64 v[106:107], v[136:137], s[0:1], v[106:107]
	v_add_f64 v[116:117], v[114:115], v[108:109]
	v_add_f64 v[108:109], v[108:109], -v[114:115]
	s_delay_alu instid0(VALU_DEP_3)
	v_add_f64 v[118:119], v[84:85], -v[106:107]
	v_add_f64 v[84:85], v[106:107], v[84:85]
	v_add_f64 v[106:107], v[212:213], -v[24:25]
	ds_store_2addr_b64 v226, v[118:119], v[116:117] offset0:14 offset1:21
	ds_store_2addr_b64 v226, v[108:109], v[84:85] offset0:28 offset1:35
	v_add_f64 v[84:85], v[142:143], v[140:141]
	v_add_f64 v[108:109], v[22:23], -v[180:181]
	ds_store_b64 v226, v[84:85] offset:336
	v_add_f64 v[84:85], v[8:9], v[72:73]
	scratch_load_b64 v[8:9], off, off offset:416 ; 8-byte Folded Reload
	v_add_f64 v[126:127], v[100:101], -v[108:109]
	v_add_f64 v[122:123], v[100:101], v[108:109]
	v_add_f64 v[100:101], v[106:107], -v[100:101]
	v_add_f64 v[114:115], v[102:103], v[84:85]
	v_add_f64 v[116:117], v[84:85], -v[86:87]
	v_mul_f64 v[126:127], v[126:127], s[12:13]
	v_add_f64 v[84:85], v[102:103], -v[84:85]
	v_add_f64 v[122:123], v[122:123], v[106:107]
	v_add_f64 v[114:115], v[86:87], v[114:115]
	v_add_f64 v[86:87], v[86:87], -v[102:103]
	v_mul_f64 v[116:117], v[116:117], s[18:19]
	v_add_f64 v[102:103], v[108:109], -v[106:107]
	v_fma_f64 v[130:131], v[100:101], s[2:3], v[126:127]
	s_delay_alu instid0(VALU_DEP_3) | instskip(SKIP_1) | instid1(VALU_DEP_4)
	v_fma_f64 v[128:129], v[86:87], s[22:23], v[116:117]
	v_mul_f64 v[86:87], v[86:87], s[22:23]
	v_fma_f64 v[106:107], v[102:103], s[6:7], -v[126:127]
	v_mul_f64 v[102:103], v[102:103], s[6:7]
	v_fma_f64 v[130:131], v[122:123], s[0:1], v[130:131]
	s_delay_alu instid0(VALU_DEP_4) | instskip(SKIP_1) | instid1(VALU_DEP_4)
	v_fma_f64 v[86:87], v[84:85], s[20:21], -v[86:87]
	v_fma_f64 v[84:85], v[84:85], s[24:25], -v[116:117]
	;; [unrolled: 1-line block ×3, first 2 shown]
	v_fma_f64 v[102:103], v[122:123], s[0:1], v[106:107]
	s_delay_alu instid0(VALU_DEP_2) | instskip(SKIP_4) | instid1(VALU_DEP_1)
	v_fma_f64 v[100:101], v[122:123], s[0:1], v[100:101]
	s_waitcnt vmcnt(0)
	v_add_f64 v[118:119], v[8:9], v[114:115]
	scratch_load_b64 v[8:9], off, off offset:408 ; 8-byte Folded Reload
	v_fma_f64 v[114:115], v[114:115], s[16:17], v[118:119]
	v_add_f64 v[86:87], v[86:87], v[114:115]
	v_add_f64 v[84:85], v[84:85], v[114:115]
	;; [unrolled: 1-line block ×3, first 2 shown]
	s_delay_alu instid0(VALU_DEP_3) | instskip(NEXT) | instid1(VALU_DEP_3)
	v_add_f64 v[106:107], v[102:103], v[86:87]
	v_add_f64 v[108:109], v[84:85], -v[100:101]
	v_add_f64 v[86:87], v[86:87], -v[102:103]
	v_add_f64 v[84:85], v[100:101], v[84:85]
	v_add_f64 v[132:133], v[128:129], -v[130:131]
	v_add_f64 v[102:103], v[166:167], -v[134:135]
	v_add_f64 v[100:101], v[214:215], -v[146:147]
	v_mov_b32_e32 v166, v21
	ds_store_2addr_b64 v235, v[108:109], v[106:107] offset0:14 offset1:21
	v_add_f64 v[106:107], v[94:95], v[90:91]
	ds_store_2addr_b64 v235, v[86:87], v[84:85] offset0:28 offset1:35
	v_add_f64 v[84:85], v[130:131], v[128:129]
	v_add_f64 v[86:87], v[164:165], v[88:89]
	ds_store_2addr_b64 v235, v[118:119], v[132:133] offset1:7
	v_add_f64 v[118:119], v[104:105], -v[102:103]
	v_add_f64 v[116:117], v[104:105], v[102:103]
	v_add_f64 v[104:105], v[100:101], -v[104:105]
	ds_store_b64 v235, v[84:85] offset:336
	v_add_f64 v[84:85], v[54:55], v[18:19]
	v_mul_f64 v[118:119], v[118:119], s[12:13]
	v_add_f64 v[116:117], v[116:117], v[100:101]
	s_delay_alu instid0(VALU_DEP_3) | instskip(SKIP_3) | instid1(VALU_DEP_4)
	v_add_f64 v[108:109], v[86:87], v[84:85]
	v_add_f64 v[114:115], v[84:85], -v[106:107]
	v_add_f64 v[84:85], v[86:87], -v[84:85]
	v_fma_f64 v[122:123], v[104:105], s[2:3], v[118:119]
	v_add_f64 v[108:109], v[106:107], v[108:109]
	v_add_f64 v[106:107], v[106:107], -v[86:87]
	v_add_f64 v[86:87], v[102:103], -v[100:101]
	v_mul_f64 v[114:115], v[114:115], s[18:19]
	v_fma_f64 v[122:123], v[116:117], s[0:1], v[122:123]
	s_delay_alu instid0(VALU_DEP_4) | instskip(NEXT) | instid1(VALU_DEP_4)
	v_mul_f64 v[100:101], v[106:107], s[22:23]
	v_fma_f64 v[102:103], v[86:87], s[6:7], -v[118:119]
	v_mul_f64 v[86:87], v[86:87], s[6:7]
	v_fma_f64 v[120:121], v[106:107], s[22:23], v[114:115]
	s_waitcnt vmcnt(0)
	v_add_f64 v[112:113], v[8:9], v[108:109]
	v_mov_b32_e32 v8, v209
	v_fma_f64 v[100:101], v[84:85], s[20:21], -v[100:101]
	v_fma_f64 v[84:85], v[84:85], s[24:25], -v[114:115]
	;; [unrolled: 1-line block ×3, first 2 shown]
	v_fma_f64 v[102:103], v[116:117], s[0:1], v[102:103]
	v_fma_f64 v[108:109], v[108:109], s[16:17], v[112:113]
	s_delay_alu instid0(VALU_DEP_3) | instskip(NEXT) | instid1(VALU_DEP_2)
	v_fma_f64 v[86:87], v[116:117], s[0:1], v[86:87]
	v_add_f64 v[100:101], v[100:101], v[108:109]
	v_add_f64 v[84:85], v[84:85], v[108:109]
	v_add_f64 v[120:121], v[120:121], v[108:109]
	s_delay_alu instid0(VALU_DEP_3) | instskip(NEXT) | instid1(VALU_DEP_3)
	v_add_f64 v[104:105], v[102:103], v[100:101]
	v_add_f64 v[106:107], v[84:85], -v[86:87]
	v_add_f64 v[100:101], v[100:101], -v[102:103]
	v_add_f64 v[84:85], v[86:87], v[84:85]
	v_add_f64 v[124:125], v[120:121], -v[122:123]
	ds_store_2addr_b64 v234, v[106:107], v[104:105] offset0:14 offset1:21
	ds_store_2addr_b64 v234, v[100:101], v[84:85] offset0:28 offset1:35
	v_add_f64 v[84:85], v[122:123], v[120:121]
	ds_store_2addr_b64 v234, v[112:113], v[124:125] offset1:7
	ds_store_b64 v234, v[84:85] offset:336
	v_mul_u32_u24_e32 v84, 6, v0
	s_waitcnt lgkmcnt(0)
	s_barrier
	buffer_gl0_inv
	ds_load_2addr_b64 v[102:105], v208 offset0:87 offset1:136
	v_lshlrev_b32_e32 v112, 4, v84
	s_clause 0x1
	scratch_store_b32 off, v16, off offset:288
	scratch_store_b32 off, v13, off offset:296
	s_clause 0x3
	global_load_b128 v[84:87], v112, s[4:5] offset:672
	global_load_b128 v[106:109], v112, s[4:5] offset:688
	;; [unrolled: 1-line block ×4, first 2 shown]
	s_waitcnt vmcnt(3) lgkmcnt(0)
	v_mul_f64 v[100:101], v[102:103], v[86:87]
	s_delay_alu instid0(VALU_DEP_1) | instskip(SKIP_2) | instid1(VALU_DEP_2)
	v_fma_f64 v[138:139], v[80:81], v[84:85], -v[100:101]
	v_mul_f64 v[100:101], v[104:105], v[86:87]
	v_mul_f64 v[80:81], v[80:81], v[86:87]
	v_fma_f64 v[248:249], v[82:83], v[84:85], -v[100:101]
	v_mul_f64 v[82:83], v[82:83], v[86:87]
	s_delay_alu instid0(VALU_DEP_3) | instskip(NEXT) | instid1(VALU_DEP_2)
	v_fma_f64 v[152:153], v[102:103], v[84:85], v[80:81]
	v_fma_f64 v[236:237], v[104:105], v[84:85], v[82:83]
	global_load_b128 v[84:87], v112, s[4:5] offset:704
	ds_load_2addr_b64 v[102:105], v255 offset0:5 offset1:54
	s_waitcnt vmcnt(0) lgkmcnt(0)
	v_mul_f64 v[82:83], v[102:103], v[86:87]
	s_delay_alu instid0(VALU_DEP_1)
	v_fma_f64 v[94:95], v[76:77], v[84:85], -v[82:83]
	v_mul_f64 v[82:83], v[104:105], v[86:87]
	v_mul_f64 v[76:77], v[76:77], v[86:87]
	scratch_store_b64 off, v[94:95], off offset:192 ; 8-byte Folded Spill
	v_fma_f64 v[132:133], v[78:79], v[84:85], -v[82:83]
	v_mul_f64 v[78:79], v[78:79], v[86:87]
	v_fma_f64 v[76:77], v[102:103], v[84:85], v[76:77]
	s_delay_alu instid0(VALU_DEP_2)
	v_fma_f64 v[100:101], v[104:105], v[84:85], v[78:79]
	global_load_b128 v[84:87], v112, s[4:5] offset:736
	ds_load_2addr_b64 v[102:105], v209 offset0:179 offset1:228
	s_waitcnt vmcnt(0)
	v_mul_f64 v[74:75], v[3:4], v[86:87]
	s_waitcnt lgkmcnt(0)
	v_mul_f64 v[78:79], v[102:103], v[86:87]
	v_mul_f64 v[72:73], v[1:2], v[86:87]
	s_delay_alu instid0(VALU_DEP_3)
	v_fma_f64 v[90:91], v[104:105], v[84:85], v[74:75]
	scratch_load_b32 v74, off, off offset:32 ; 4-byte Folded Reload
	v_fma_f64 v[18:19], v[1:2], v[84:85], -v[78:79]
	v_mul_f64 v[78:79], v[104:105], v[86:87]
	v_fma_f64 v[88:89], v[102:103], v[84:85], v[72:73]
	ds_load_2addr_b64 v[102:105], v208 offset0:185 offset1:234
	s_clause 0x3
	scratch_store_b64 off, v[138:139], off offset:232
	scratch_store_b64 off, v[152:153], off offset:280
	;; [unrolled: 1-line block ×4, first 2 shown]
	v_fma_f64 v[92:93], v[3:4], v[84:85], -v[78:79]
	scratch_store_b64 off, v[88:89], off offset:256 ; 8-byte Folded Spill
	s_waitcnt vmcnt(0)
	v_mul_lo_u16 v74, 0x4f, v74
	s_delay_alu instid0(VALU_DEP_1) | instskip(NEXT) | instid1(VALU_DEP_1)
	v_lshrrev_b16 v74, 8, v74
	v_sub_nc_u16 v75, v16, v74
	s_delay_alu instid0(VALU_DEP_1) | instskip(NEXT) | instid1(VALU_DEP_1)
	v_lshrrev_b16 v75, 1, v75
	v_and_b32_e32 v75, 0x7f, v75
	s_delay_alu instid0(VALU_DEP_1) | instskip(NEXT) | instid1(VALU_DEP_1)
	v_add_nc_u16 v74, v75, v74
	v_lshrrev_b16 v74, 5, v74
	s_delay_alu instid0(VALU_DEP_1) | instskip(NEXT) | instid1(VALU_DEP_1)
	v_mul_lo_u16 v74, v74, 49
	v_sub_nc_u16 v74, v16, v74
	s_delay_alu instid0(VALU_DEP_1) | instskip(NEXT) | instid1(VALU_DEP_1)
	v_and_b32_e32 v74, 0xff, v74
	v_mul_u32_u24_e32 v75, 6, v74
	s_delay_alu instid0(VALU_DEP_1)
	v_lshlrev_b32_e32 v75, 4, v75
	s_clause 0x1
	global_load_b128 v[84:87], v75, s[4:5] offset:672
	global_load_b128 v[180:183], v75, s[4:5] offset:688
	s_waitcnt vmcnt(1) lgkmcnt(0)
	v_mul_f64 v[113:114], v[102:103], v[86:87]
	s_delay_alu instid0(VALU_DEP_1) | instskip(SKIP_2) | instid1(VALU_DEP_2)
	v_fma_f64 v[199:200], v[68:69], v[84:85], -v[113:114]
	v_mul_f64 v[68:69], v[68:69], v[86:87]
	v_add_nc_u32_e32 v115, 0x3c00, v254
	v_fma_f64 v[126:127], v[102:103], v[84:85], v[68:69]
	scratch_load_b32 v68, off, off offset:64 ; 4-byte Folded Reload
	s_waitcnt vmcnt(0)
	v_mul_lo_u16 v68, 0x4f, v68
	s_delay_alu instid0(VALU_DEP_1) | instskip(NEXT) | instid1(VALU_DEP_1)
	v_lshrrev_b16 v68, 8, v68
	v_sub_nc_u16 v69, v13, v68
	s_delay_alu instid0(VALU_DEP_1) | instskip(NEXT) | instid1(VALU_DEP_1)
	v_lshrrev_b16 v69, 1, v69
	v_dual_mov_b32 v238, v42 :: v_dual_and_b32 v69, 0x7f, v69
	s_delay_alu instid0(VALU_DEP_1) | instskip(NEXT) | instid1(VALU_DEP_1)
	v_add_nc_u16 v68, v69, v68
	v_lshrrev_b16 v68, 5, v68
	s_delay_alu instid0(VALU_DEP_1) | instskip(NEXT) | instid1(VALU_DEP_1)
	v_mul_lo_u16 v68, v68, 49
	v_sub_nc_u16 v68, v13, v68
	s_delay_alu instid0(VALU_DEP_1) | instskip(NEXT) | instid1(VALU_DEP_1)
	v_and_b32_e32 v68, 0xff, v68
	v_mul_u32_u24_e32 v69, 6, v68
	s_delay_alu instid0(VALU_DEP_1)
	v_lshlrev_b32_e32 v110, 4, v69
	s_clause 0x2
	global_load_b128 v[84:87], v110, s[4:5] offset:672
	global_load_b128 v[122:125], v110, s[4:5] offset:688
	;; [unrolled: 1-line block ×3, first 2 shown]
	s_waitcnt vmcnt(2)
	v_mul_f64 v[102:103], v[104:105], v[86:87]
	s_delay_alu instid0(VALU_DEP_1) | instskip(SKIP_1) | instid1(VALU_DEP_1)
	v_fma_f64 v[146:147], v[70:71], v[84:85], -v[102:103]
	v_mul_f64 v[69:70], v[70:71], v[86:87]
	v_fma_f64 v[226:227], v[104:105], v[84:85], v[69:70]
	global_load_b128 v[84:87], v75, s[4:5] offset:704
	ds_load_2addr_b64 v[102:105], v255 offset0:103 offset1:152
	s_waitcnt vmcnt(0) lgkmcnt(0)
	v_mul_f64 v[69:70], v[102:103], v[86:87]
	s_delay_alu instid0(VALU_DEP_1) | instskip(SKIP_1) | instid1(VALU_DEP_1)
	v_fma_f64 v[71:72], v[64:65], v[84:85], -v[69:70]
	v_mul_f64 v[64:65], v[64:65], v[86:87]
	v_fma_f64 v[118:119], v[102:103], v[84:85], v[64:65]
	s_clause 0x1
	global_load_b128 v[84:87], v110, s[4:5] offset:704
	global_load_b128 v[134:137], v110, s[4:5] offset:720
	s_waitcnt vmcnt(1)
	v_mul_f64 v[64:65], v[104:105], v[86:87]
	s_waitcnt vmcnt(0)
	v_mul_f64 v[52:53], v[28:29], v[136:137]
	s_delay_alu instid0(VALU_DEP_2) | instskip(SKIP_1) | instid1(VALU_DEP_1)
	v_fma_f64 v[160:161], v[66:67], v[84:85], -v[64:65]
	v_mul_f64 v[64:65], v[66:67], v[86:87]
	v_fma_f64 v[202:203], v[104:105], v[84:85], v[64:65]
	s_clause 0x1
	global_load_b128 v[64:67], v75, s[4:5] offset:736
	global_load_b128 v[102:105], v75, s[4:5] offset:752
	ds_load_2addr_b64 v[84:87], v7 offset0:21 offset1:70
	s_waitcnt vmcnt(1) lgkmcnt(0)
	v_mul_f64 v[69:70], v[84:85], v[66:67]
	s_delay_alu instid0(VALU_DEP_1) | instskip(SKIP_1) | instid1(VALU_DEP_1)
	v_fma_f64 v[78:79], v[60:61], v[64:65], -v[69:70]
	v_mul_f64 v[60:61], v[60:61], v[66:67]
	v_fma_f64 v[116:117], v[84:85], v[64:65], v[60:61]
	s_clause 0x1
	global_load_b128 v[64:67], v110, s[4:5] offset:736
	global_load_b128 v[140:143], v110, s[4:5] offset:752
	scratch_store_b32 off, v12, off offset:304 ; 4-byte Folded Spill
	s_waitcnt vmcnt(1)
	v_mul_f64 v[60:61], v[86:87], v[66:67]
	s_delay_alu instid0(VALU_DEP_1) | instskip(SKIP_1) | instid1(VALU_DEP_1)
	v_fma_f64 v[222:223], v[62:63], v[64:65], -v[60:61]
	v_mul_f64 v[60:61], v[62:63], v[66:67]
	v_fma_f64 v[86:87], v[86:87], v[64:65], v[60:61]
	ds_load_2addr_b64 v[60:63], v17 offset0:65 offset1:114
	s_waitcnt lgkmcnt(0)
	v_mul_f64 v[64:65], v[60:61], v[124:125]
	s_delay_alu instid0(VALU_DEP_1) | instskip(SKIP_2) | instid1(VALU_DEP_2)
	v_fma_f64 v[167:168], v[56:57], v[122:123], -v[64:65]
	v_mul_f64 v[56:57], v[56:57], v[124:125]
	v_add_nc_u32_e32 v114, 0x1400, v254
	v_fma_f64 v[158:159], v[60:61], v[122:123], v[56:57]
	scratch_load_b32 v56, off, off offset:48 ; 4-byte Folded Reload
	s_waitcnt vmcnt(0)
	v_mul_lo_u16 v56, 0x4f, v56
	s_delay_alu instid0(VALU_DEP_1) | instskip(NEXT) | instid1(VALU_DEP_1)
	v_lshrrev_b16 v56, 8, v56
	v_sub_nc_u16 v57, v12, v56
	s_delay_alu instid0(VALU_DEP_1) | instskip(NEXT) | instid1(VALU_DEP_1)
	v_lshrrev_b16 v57, 1, v57
	v_and_b32_e32 v57, 0x7f, v57
	s_delay_alu instid0(VALU_DEP_1) | instskip(NEXT) | instid1(VALU_DEP_1)
	v_add_nc_u16 v56, v57, v56
	v_lshrrev_b16 v56, 5, v56
	s_delay_alu instid0(VALU_DEP_1) | instskip(NEXT) | instid1(VALU_DEP_1)
	v_mul_lo_u16 v56, v56, 49
	v_sub_nc_u16 v56, v12, v56
	s_delay_alu instid0(VALU_DEP_1) | instskip(NEXT) | instid1(VALU_DEP_1)
	v_and_b32_e32 v56, 0xff, v56
	v_mul_u32_u24_e32 v57, 6, v56
	s_delay_alu instid0(VALU_DEP_1)
	v_lshlrev_b32_e32 v69, 4, v57
	s_clause 0x1
	global_load_b128 v[64:67], v69, s[4:5] offset:688
	global_load_b128 v[172:175], v69, s[4:5] offset:672
	s_waitcnt vmcnt(1)
	v_mul_f64 v[60:61], v[62:63], v[66:67]
	s_delay_alu instid0(VALU_DEP_1) | instskip(SKIP_1) | instid1(VALU_DEP_1)
	v_fma_f64 v[169:170], v[58:59], v[64:65], -v[60:61]
	v_mul_f64 v[57:58], v[58:59], v[66:67]
	v_fma_f64 v[204:205], v[62:63], v[64:65], v[57:58]
	ds_load_2addr_b64 v[57:60], v6 offset0:111 offset1:160
	s_waitcnt lgkmcnt(0)
	v_mul_f64 v[61:62], v[57:58], v[136:137]
	v_fma_f64 v[110:111], v[57:58], v[134:135], v[52:53]
	s_delay_alu instid0(VALU_DEP_2)
	v_fma_f64 v[252:253], v[28:29], v[134:135], -v[61:62]
	s_clause 0x1
	global_load_b128 v[61:64], v69, s[4:5] offset:720
	global_load_b128 v[184:187], v69, s[4:5] offset:704
	s_waitcnt vmcnt(1)
	v_mul_f64 v[52:53], v[59:60], v[63:64]
	s_waitcnt vmcnt(0)
	v_mul_f64 v[40:41], v[36:37], v[186:187]
	s_delay_alu instid0(VALU_DEP_2) | instskip(SKIP_1) | instid1(VALU_DEP_1)
	v_fma_f64 v[206:207], v[30:31], v[61:62], -v[52:53]
	v_mul_f64 v[52:53], v[30:31], v[63:64]
	v_fma_f64 v[218:219], v[59:60], v[61:62], v[52:53]
	ds_load_2addr_b64 v[52:55], v5 offset0:157 offset1:206
	s_waitcnt lgkmcnt(0)
	v_mul_f64 v[57:58], v[52:53], v[142:143]
	s_delay_alu instid0(VALU_DEP_1)
	v_fma_f64 v[80:81], v[48:49], v[140:141], -v[57:58]
	s_clause 0x1
	global_load_b128 v[57:60], v69, s[4:5] offset:752
	global_load_b128 v[61:64], v69, s[4:5] offset:736
	v_mul_f64 v[48:49], v[48:49], v[142:143]
	scratch_store_b32 off, v20, off offset:312 ; 4-byte Folded Spill
	v_fma_f64 v[98:99], v[52:53], v[140:141], v[48:49]
	s_waitcnt vmcnt(1)
	v_mul_f64 v[48:49], v[54:55], v[59:60]
	s_delay_alu instid0(VALU_DEP_1) | instskip(SKIP_1) | instid1(VALU_DEP_1)
	v_fma_f64 v[140:141], v[50:51], v[57:58], -v[48:49]
	v_mul_f64 v[48:49], v[50:51], v[59:60]
	v_fma_f64 v[177:178], v[54:55], v[57:58], v[48:49]
	ds_load_2addr_b64 v[48:51], v42 offset0:27 offset1:76
	s_waitcnt lgkmcnt(0)
	v_mul_f64 v[52:53], v[48:49], v[174:175]
	s_delay_alu instid0(VALU_DEP_1) | instskip(SKIP_3) | instid1(VALU_DEP_3)
	v_fma_f64 v[69:70], v[44:45], v[172:173], -v[52:53]
	v_mul_f64 v[44:45], v[44:45], v[174:175]
	v_dual_mov_b32 v176, v127 :: v_dual_mov_b32 v175, v126
	v_dual_mov_b32 v127, v81 :: v_dual_mov_b32 v126, v80
	v_fma_f64 v[173:174], v[48:49], v[172:173], v[44:45]
	scratch_load_b32 v44, off, off offset:56 ; 4-byte Folded Reload
	v_mov_b32_e32 v172, v5
	s_waitcnt vmcnt(0)
	v_mul_u32_u24_e32 v44, 0x4e5f, v44
	s_delay_alu instid0(VALU_DEP_1) | instskip(NEXT) | instid1(VALU_DEP_1)
	v_lshrrev_b32_e32 v44, 16, v44
	v_sub_nc_u16 v45, v20, v44
	s_delay_alu instid0(VALU_DEP_1) | instskip(NEXT) | instid1(VALU_DEP_1)
	v_lshrrev_b16 v45, 1, v45
	v_add_nc_u16 v44, v45, v44
	s_delay_alu instid0(VALU_DEP_1) | instskip(NEXT) | instid1(VALU_DEP_1)
	v_lshrrev_b16 v44, 5, v44
	v_mul_lo_u16 v44, v44, 49
	s_delay_alu instid0(VALU_DEP_1) | instskip(NEXT) | instid1(VALU_DEP_1)
	v_sub_nc_u16 v44, v20, v44
	v_and_b32_e32 v44, 0xffff, v44
	s_delay_alu instid0(VALU_DEP_1) | instskip(NEXT) | instid1(VALU_DEP_1)
	v_mul_u32_u24_e32 v45, 6, v44
	v_lshlrev_b32_e32 v65, 4, v45
	s_clause 0x1
	global_load_b128 v[52:55], v65, s[4:5] offset:672
	global_load_b128 v[57:60], v65, s[4:5] offset:688
	s_waitcnt vmcnt(1)
	v_mul_f64 v[48:49], v[50:51], v[54:55]
	s_delay_alu instid0(VALU_DEP_1) | instskip(SKIP_1) | instid1(VALU_DEP_1)
	v_fma_f64 v[190:191], v[46:47], v[52:53], -v[48:49]
	v_mul_f64 v[45:46], v[46:47], v[54:55]
	v_fma_f64 v[154:155], v[50:51], v[52:53], v[45:46]
	ds_load_2addr_b64 v[45:48], v255 offset0:201 offset1:250
	s_waitcnt lgkmcnt(0)
	v_mul_f64 v[49:50], v[45:46], v[186:187]
	v_fma_f64 v[134:135], v[45:46], v[184:185], v[40:41]
	s_delay_alu instid0(VALU_DEP_2)
	v_fma_f64 v[122:123], v[36:37], v[184:185], -v[49:50]
	s_clause 0x1
	global_load_b128 v[49:52], v65, s[4:5] offset:704
	global_load_b128 v[212:215], v65, s[4:5] offset:720
	v_mul_f64 v[36:37], v[244:245], v[63:64]
	v_dual_mov_b32 v185, v168 :: v_dual_mov_b32 v184, v167
	s_waitcnt vmcnt(1)
	v_mul_f64 v[40:41], v[47:48], v[51:52]
	s_delay_alu instid0(VALU_DEP_1) | instskip(SKIP_1) | instid1(VALU_DEP_1)
	v_fma_f64 v[216:217], v[38:39], v[49:50], -v[40:41]
	v_mul_f64 v[40:41], v[38:39], v[51:52]
	v_fma_f64 v[220:221], v[47:48], v[49:50], v[40:41]
	ds_load_2addr_b64 v[40:43], v7 offset0:119 offset1:168
	s_waitcnt lgkmcnt(0)
	v_mul_f64 v[45:46], v[40:41], v[63:64]
	v_fma_f64 v[120:121], v[40:41], v[61:62], v[36:37]
	s_delay_alu instid0(VALU_DEP_2)
	v_fma_f64 v[224:225], v[244:245], v[61:62], -v[45:46]
	s_clause 0x1
	global_load_b128 v[45:48], v65, s[4:5] offset:736
	global_load_b128 v[49:52], v65, s[4:5] offset:752
	scratch_load_b128 v[0:3], off, off offset:392 ; 16-byte Folded Reload
	v_dual_mov_b32 v245, v200 :: v_dual_mov_b32 v244, v199
	v_dual_mov_b32 v201, v147 :: v_dual_mov_b32 v200, v146
	;; [unrolled: 1-line block ×3, first 2 shown]
	scratch_store_b32 off, v232, off offset:320 ; 4-byte Folded Spill
	s_waitcnt vmcnt(2)
	v_mul_f64 v[36:37], v[42:43], v[47:48]
	s_waitcnt vmcnt(0)
	v_mul_f64 v[34:35], v[2:3], v[182:183]
	v_mul_f64 v[32:33], v[0:1], v[108:109]
	s_delay_alu instid0(VALU_DEP_3) | instskip(SKIP_1) | instid1(VALU_DEP_1)
	v_fma_f64 v[130:131], v[246:247], v[45:46], -v[36:37]
	v_mul_f64 v[36:37], v[246:247], v[47:48]
	v_fma_f64 v[82:83], v[42:43], v[45:46], v[36:37]
	ds_load_2addr_b64 v[36:39], v114 offset0:95 offset1:144
	v_dual_mov_b32 v66, v140 :: v_dual_mov_b32 v67, v141
	s_waitcnt lgkmcnt(0)
	v_mul_f64 v[40:41], v[38:39], v[182:183]
	v_fma_f64 v[162:163], v[38:39], v[180:181], v[34:35]
	v_mul_f64 v[34:35], v[36:37], v[108:109]
	v_fma_f64 v[144:145], v[36:37], v[106:107], v[32:33]
	ds_load_2addr_b64 v[36:39], v238 offset0:125 offset1:174
	v_fma_f64 v[246:247], v[2:3], v[180:181], -v[40:41]
	s_waitcnt lgkmcnt(0)
	v_mul_f64 v[40:41], v[38:39], v[108:109]
	v_fma_f64 v[250:251], v[0:1], v[106:107], -v[34:35]
	scratch_load_b128 v[0:3], off, off offset:376 ; 16-byte Folded Reload
	s_waitcnt vmcnt(0)
	v_mul_f64 v[26:27], v[2:3], v[108:109]
	v_fma_f64 v[30:31], v[2:3], v[106:107], -v[40:41]
	s_delay_alu instid0(VALU_DEP_2)
	v_fma_f64 v[42:43], v[38:39], v[106:107], v[26:27]
	scratch_load_b32 v26, off, off offset:40 ; 4-byte Folded Reload
	s_clause 0x1
	scratch_store_b64 off, v[30:31], off offset:48
	scratch_store_b64 off, v[42:43], off offset:64
	s_waitcnt vmcnt(0)
	v_mul_u32_u24_e32 v26, 0x4e5f, v26
	s_delay_alu instid0(VALU_DEP_1) | instskip(NEXT) | instid1(VALU_DEP_1)
	v_lshrrev_b32_e32 v26, 16, v26
	v_sub_nc_u16 v27, v232, v26
	s_delay_alu instid0(VALU_DEP_1) | instskip(NEXT) | instid1(VALU_DEP_1)
	v_lshrrev_b16 v27, 1, v27
	v_add_nc_u16 v26, v27, v26
	s_delay_alu instid0(VALU_DEP_1) | instskip(NEXT) | instid1(VALU_DEP_1)
	v_lshrrev_b16 v26, 5, v26
	v_mul_lo_u16 v26, v26, 49
	s_delay_alu instid0(VALU_DEP_1) | instskip(NEXT) | instid1(VALU_DEP_1)
	v_sub_nc_u16 v26, v232, v26
	v_and_b32_e32 v40, 0xffff, v26
	s_delay_alu instid0(VALU_DEP_1) | instskip(NEXT) | instid1(VALU_DEP_1)
	v_mul_u32_u24_e32 v26, 6, v40
	v_lshlrev_b32_e32 v41, 4, v26
	s_clause 0x1
	global_load_b128 v[45:48], v41, s[4:5] offset:672
	global_load_b128 v[61:64], v41, s[4:5] offset:688
	s_waitcnt vmcnt(1)
	v_mul_f64 v[26:27], v[36:37], v[47:48]
	v_mul_f64 v[24:25], v[0:1], v[47:48]
	s_delay_alu instid0(VALU_DEP_2)
	v_fma_f64 v[108:109], v[0:1], v[45:46], -v[26:27]
	scratch_load_b128 v[0:3], off, off offset:360 ; 16-byte Folded Reload
	v_fma_f64 v[136:137], v[36:37], v[45:46], v[24:25]
	ds_load_2addr_b64 v[24:27], v17 offset0:163 offset1:212
	s_waitcnt lgkmcnt(0)
	v_mul_f64 v[36:37], v[24:25], v[59:60]
	s_waitcnt vmcnt(0)
	v_mul_f64 v[28:29], v[0:1], v[59:60]
	s_delay_alu instid0(VALU_DEP_2) | instskip(SKIP_1) | instid1(VALU_DEP_3)
	v_fma_f64 v[32:33], v[0:1], v[57:58], -v[36:37]
	v_dual_mov_b32 v198, v226 :: v_dual_mov_b32 v199, v227
	v_fma_f64 v[53:54], v[24:25], v[57:58], v[28:29]
	s_delay_alu instid0(VALU_DEP_3) | instskip(SKIP_1) | instid1(VALU_DEP_1)
	v_mov_b32_e32 v227, v33
	v_mul_f64 v[24:25], v[26:27], v[63:64]
	v_fma_f64 v[124:125], v[2:3], v[61:62], -v[24:25]
	v_mul_f64 v[24:25], v[2:3], v[63:64]
	scratch_load_b128 v[0:3], off, off offset:264 ; 16-byte Folded Reload
	v_fma_f64 v[106:107], v[26:27], v[61:62], v[24:25]
	ds_load_2addr_b64 v[24:27], v21 offset0:141 offset1:190
	s_waitcnt lgkmcnt(0)
	v_mul_f64 v[28:29], v[26:27], v[210:211]
	v_dual_mov_b32 v80, v106 :: v_dual_mov_b32 v81, v107
	s_waitcnt vmcnt(0)
	v_mul_f64 v[22:23], v[2:3], v[210:211]
	s_delay_alu instid0(VALU_DEP_3) | instskip(SKIP_2) | instid1(VALU_DEP_4)
	v_fma_f64 v[188:189], v[2:3], v[208:209], -v[28:29]
	v_mul_f64 v[20:21], v[0:1], v[150:151]
	v_dual_mov_b32 v211, v155 :: v_dual_mov_b32 v210, v154
	v_fma_f64 v[182:183], v[26:27], v[208:209], v[22:23]
	v_mul_f64 v[22:23], v[24:25], v[150:151]
	v_dual_mov_b32 v209, v117 :: v_dual_mov_b32 v208, v116
	v_mov_b32_e32 v117, v99
	s_delay_alu instid0(VALU_DEP_3)
	v_fma_f64 v[59:60], v[0:1], v[148:149], -v[22:23]
	scratch_load_b128 v[0:3], off, off offset:200 ; 16-byte Folded Reload
	v_fma_f64 v[22:23], v[24:25], v[148:149], v[20:21]
	ds_load_2addr_b64 v[24:27], v166 offset0:43 offset1:92
	s_waitcnt lgkmcnt(0)
	v_mul_f64 v[28:29], v[26:27], v[150:151]
	s_waitcnt vmcnt(0)
	v_mul_f64 v[14:15], v[2:3], v[150:151]
	s_delay_alu instid0(VALU_DEP_2) | instskip(NEXT) | instid1(VALU_DEP_2)
	v_fma_f64 v[45:46], v[2:3], v[148:149], -v[28:29]
	v_fma_f64 v[47:48], v[26:27], v[148:149], v[14:15]
	scratch_store_b64 off, v[45:46], off offset:32 ; 8-byte Folded Spill
	v_lshl_add_u32 v149, v68, 3, 0
	v_lshl_add_u32 v148, v56, 3, 0
	s_delay_alu instid0(VALU_DEP_2) | instskip(NEXT) | instid1(VALU_DEP_2)
	v_add_nc_u32_e32 v161, 0x2000, v149
	v_add_nc_u32_e32 v160, 0x2800, v148
	scratch_store_b64 off, v[47:48], off offset:56 ; 8-byte Folded Spill
	s_clause 0x1
	global_load_b128 v[26:29], v41, s[4:5] offset:704
	global_load_b128 v[36:39], v41, s[4:5] offset:720
	s_waitcnt vmcnt(1)
	v_mul_f64 v[14:15], v[24:25], v[28:29]
	v_mul_f64 v[12:13], v[0:1], v[28:29]
	s_delay_alu instid0(VALU_DEP_2)
	v_fma_f64 v[96:97], v[0:1], v[26:27], -v[14:15]
	scratch_load_b128 v[0:3], off, off offset:216 ; 16-byte Folded Reload
	v_fma_f64 v[142:143], v[24:25], v[26:27], v[12:13]
	ds_load_2addr_b64 v[12:15], v8 offset0:81 offset1:130
	v_mov_b32_e32 v226, v32
	v_dual_mov_b32 v32, v136 :: v_dual_mov_b32 v33, v137
	s_waitcnt lgkmcnt(0)
	v_mul_f64 v[24:25], v[12:13], v[214:215]
	s_waitcnt vmcnt(0)
	v_mul_f64 v[16:17], v[0:1], v[214:215]
	s_delay_alu instid0(VALU_DEP_2) | instskip(SKIP_2) | instid1(VALU_DEP_4)
	v_fma_f64 v[150:151], v[0:1], v[212:213], -v[24:25]
	v_dual_mov_b32 v215, v207 :: v_dual_mov_b32 v214, v206
	v_dual_mov_b32 v207, v191 :: v_dual_mov_b32 v116, v98
	v_fma_f64 v[62:63], v[12:13], v[212:213], v[16:17]
	v_mul_f64 v[12:13], v[14:15], v[38:39]
	v_mov_b32_e32 v213, v170
	v_dual_mov_b32 v64, v150 :: v_dual_mov_b32 v65, v151
	v_mov_b32_e32 v212, v169
	v_lshl_add_u32 v151, v44, 3, 0
	v_lshl_add_u32 v150, v40, 3, 0
	v_dual_mov_b32 v206, v190 :: v_dual_mov_b32 v191, v97
	s_delay_alu instid0(VALU_DEP_3)
	v_dual_mov_b32 v190, v96 :: v_dual_add_nc_u32 v181, 0x3000, v151
	v_add_nc_u32_e32 v169, 0x3800, v151
	v_add_f64 v[96:97], v[59:60], -v[132:133]
	v_mov_b32_e32 v170, v238
	v_fma_f64 v[194:195], v[2:3], v[36:37], -v[12:13]
	v_mul_f64 v[12:13], v[2:3], v[38:39]
	scratch_load_b128 v[0:3], off, off offset:176 ; 16-byte Folded Reload
	v_fma_f64 v[57:58], v[14:15], v[36:37], v[12:13]
	ds_load_2addr_b64 v[12:15], v5 offset0:59 offset1:108
	s_waitcnt lgkmcnt(0)
	v_mul_f64 v[16:17], v[14:15], v[104:105]
	v_dual_mov_b32 v141, v58 :: v_dual_mov_b32 v140, v57
	s_waitcnt vmcnt(0)
	v_mul_f64 v[10:11], v[2:3], v[104:105]
	s_delay_alu instid0(VALU_DEP_3) | instskip(SKIP_1) | instid1(VALU_DEP_3)
	v_fma_f64 v[242:243], v[2:3], v[102:103], -v[16:17]
	v_mul_f64 v[8:9], v[0:1], v[230:231]
	v_fma_f64 v[128:129], v[14:15], v[102:103], v[10:11]
	v_mul_f64 v[10:11], v[12:13], v[230:231]
	s_delay_alu instid0(VALU_DEP_1)
	v_fma_f64 v[20:21], v[0:1], v[228:229], -v[10:11]
	scratch_load_b128 v[0:3], off, off offset:160 ; 16-byte Folded Reload
	v_fma_f64 v[10:11], v[12:13], v[228:229], v[8:9]
	ds_load_2addr_b64 v[12:15], v115 offset0:89 offset1:138
	s_waitcnt lgkmcnt(0)
	v_mul_f64 v[16:17], v[14:15], v[230:231]
	s_waitcnt vmcnt(0)
	v_mul_f64 v[6:7], v[2:3], v[230:231]
	s_delay_alu instid0(VALU_DEP_2) | instskip(NEXT) | instid1(VALU_DEP_2)
	v_fma_f64 v[28:29], v[2:3], v[228:229], -v[16:17]
	v_fma_f64 v[34:35], v[14:15], v[228:229], v[6:7]
	scratch_store_b64 off, v[28:29], off offset:40 ; 8-byte Folded Spill
	v_mov_b32_e32 v229, v83
	scratch_store_b64 off, v[34:35], off offset:176 ; 8-byte Folded Spill
	s_clause 0x1
	global_load_b128 v[14:17], v41, s[4:5] offset:736
	global_load_b128 v[24:27], v41, s[4:5] offset:752
	s_clause 0x3
	scratch_load_b32 v61, off, off
	scratch_load_b32 v85, off, off offset:16
	scratch_load_b32 v73, off, off offset:120
	;; [unrolled: 1-line block ×3, first 2 shown]
	s_waitcnt vmcnt(5)
	v_mul_f64 v[6:7], v[12:13], v[16:17]
	v_mul_f64 v[4:5], v[0:1], v[16:17]
	s_waitcnt vmcnt(2)
	ds_load_b64 v[102:103], v85
	s_waitcnt vmcnt(1)
	ds_load_b64 v[164:165], v73
	v_fma_f64 v[104:105], v[0:1], v[14:15], -v[6:7]
	scratch_load_b128 v[0:3], off, off offset:144 ; 16-byte Folded Reload
	v_fma_f64 v[8:9], v[12:13], v[14:15], v[4:5]
	ds_load_2addr_b64 v[4:7], v233 offset0:127 offset1:176
	ds_load_b64 v[232:233], v254
	v_add_nc_u32_e32 v168, 0x3000, v148
	v_mov_b32_e32 v228, v82
	s_waitcnt lgkmcnt(1)
	v_mul_f64 v[12:13], v[4:5], v[51:52]
	v_mov_b32_e32 v155, v105
	v_dual_mov_b32 v83, v9 :: v_dual_mov_b32 v82, v8
	s_waitcnt vmcnt(0)
	s_delay_alu instid0(VALU_DEP_3) | instskip(SKIP_1) | instid1(VALU_DEP_1)
	v_fma_f64 v[179:180], v[0:1], v[49:50], -v[12:13]
	v_mul_f64 v[0:1], v[0:1], v[51:52]
	v_fma_f64 v[234:235], v[4:5], v[49:50], v[0:1]
	v_mul_f64 v[0:1], v[6:7], v[26:27]
	v_add_f64 v[4:5], v[30:31], v[18:19]
	v_add_f64 v[18:19], v[42:43], -v[88:89]
	v_add_f64 v[88:89], v[236:237], v[10:11]
	s_delay_alu instid0(VALU_DEP_4)
	v_fma_f64 v[230:231], v[2:3], v[24:25], -v[0:1]
	v_mul_f64 v[0:1], v[2:3], v[26:27]
	v_add_f64 v[2:3], v[138:139], v[28:29]
	s_clause 0x1
	scratch_load_b32 v138, off, off offset:8
	scratch_load_b32 v139, off, off offset:4
	v_add_f64 v[26:27], v[152:153], -v[34:35]
	ds_load_b64 v[196:197], v84
	v_add_nc_u32_e32 v152, 0xc00, v254
	v_dual_mov_b32 v34, v53 :: v_dual_mov_b32 v35, v54
	v_dual_mov_b32 v154, v104 :: v_dual_add_nc_u32 v153, 0x4000, v150
	v_fma_f64 v[186:187], v[6:7], v[24:25], v[0:1]
	v_add_f64 v[0:1], v[94:95], v[45:46]
	v_add_f64 v[6:7], v[4:5], v[2:3]
	;; [unrolled: 1-line block ×3, first 2 shown]
	s_delay_alu instid0(VALU_DEP_3) | instskip(NEXT) | instid1(VALU_DEP_3)
	v_add_f64 v[12:13], v[2:3], -v[0:1]
	v_add_f64 v[30:31], v[0:1], v[6:7]
	v_add_f64 v[6:7], v[0:1], -v[4:5]
	scratch_load_b64 v[0:1], off, off offset:128 ; 8-byte Folded Reload
	v_add_f64 v[2:3], v[4:5], -v[2:3]
	v_add_f64 v[4:5], v[18:19], -v[26:27]
	v_mul_f64 v[14:15], v[12:13], s[18:19]
	s_waitcnt vmcnt(2)
	ds_load_b64 v[192:193], v138
	s_waitcnt vmcnt(1)
	ds_load_b64 v[240:241], v139
	s_waitcnt vmcnt(0)
	v_add_f64 v[16:17], v[0:1], v[30:31]
	v_add_f64 v[0:1], v[47:48], -v[76:77]
	v_mov_b32_e32 v77, v72
	v_lshl_add_u32 v113, v74, 3, 0
	v_dual_mov_b32 v76, v71 :: v_dual_mov_b32 v71, v122
	v_mov_b32_e32 v72, v123
	s_delay_alu instid0(VALU_DEP_3)
	v_dual_mov_b32 v74, v108 :: v_dual_add_nc_u32 v157, 0x1800, v113
	v_dual_mov_b32 v75, v109 :: v_dual_add_nc_u32 v156, 0x1000, v113
	v_fma_f64 v[30:31], v[30:31], s[16:17], v[16:17]
	v_add_f64 v[28:29], v[0:1], -v[18:19]
	v_add_f64 v[12:13], v[0:1], v[18:19]
	v_add_f64 v[24:25], v[26:27], -v[0:1]
	v_fma_f64 v[0:1], v[6:7], s[22:23], v[14:15]
	v_mul_f64 v[6:7], v[6:7], s[22:23]
	v_add_f64 v[18:19], v[22:23], -v[100:101]
	v_mul_f64 v[28:29], v[28:29], s[12:13]
	v_add_f64 v[12:13], v[12:13], v[26:27]
	v_add_f64 v[36:37], v[0:1], v[30:31]
	v_fma_f64 v[6:7], v[2:3], s[20:21], -v[6:7]
	v_fma_f64 v[2:3], v[2:3], s[24:25], -v[14:15]
	v_mul_f64 v[14:15], v[4:5], s[6:7]
	v_fma_f64 v[0:1], v[24:25], s[2:3], v[28:29]
	v_fma_f64 v[4:5], v[4:5], s[6:7], -v[28:29]
	v_add_f64 v[6:7], v[6:7], v[30:31]
	v_add_f64 v[2:3], v[2:3], v[30:31]
	v_fma_f64 v[14:15], v[24:25], s[14:15], -v[14:15]
	v_add_f64 v[24:25], v[236:237], -v[10:11]
	v_add_f64 v[10:11], v[250:251], -v[92:93]
	v_fma_f64 v[38:39], v[12:13], s[0:1], v[0:1]
	v_fma_f64 v[4:5], v[12:13], s[0:1], v[4:5]
	ds_load_b64 v[0:1], v61
	s_waitcnt lgkmcnt(0)
	s_waitcnt_vscnt null, 0x0
	s_barrier
	buffer_gl0_inv
	v_fma_f64 v[14:15], v[12:13], s[0:1], v[14:15]
	v_add_f64 v[41:42], v[38:39], v[36:37]
	s_delay_alu instid0(VALU_DEP_2)
	v_add_f64 v[12:13], v[14:15], v[2:3]
	v_add_f64 v[2:3], v[2:3], -v[14:15]
	ds_store_2addr_b64 v254, v[16:17], v[41:42] offset1:49
	v_add_f64 v[16:17], v[6:7], -v[4:5]
	v_add_f64 v[4:5], v[4:5], v[6:7]
	v_add_f64 v[6:7], v[250:251], v[92:93]
	ds_store_2addr_b64 v254, v[12:13], v[16:17] offset0:98 offset1:147
	ds_store_2addr_b64 v254, v[4:5], v[2:3] offset0:196 offset1:245
	v_add_f64 v[4:5], v[248:249], v[20:21]
	v_add_f64 v[12:13], v[132:133], v[59:60]
	v_add_f64 v[2:3], v[36:37], -v[38:39]
	v_add_nc_u32_e32 v60, 0x3000, v254
	s_delay_alu instid0(VALU_DEP_4) | instskip(SKIP_3) | instid1(VALU_DEP_4)
	v_add_f64 v[14:15], v[6:7], v[4:5]
	v_add_f64 v[16:17], v[6:7], -v[4:5]
	v_add_f64 v[4:5], v[4:5], -v[12:13]
	;; [unrolled: 1-line block ×3, first 2 shown]
	v_add_f64 v[12:13], v[12:13], v[14:15]
	v_add_f64 v[14:15], v[144:145], -v[90:91]
	s_delay_alu instid0(VALU_DEP_4) | instskip(NEXT) | instid1(VALU_DEP_2)
	v_mul_f64 v[4:5], v[4:5], s[18:19]
	v_add_f64 v[26:27], v[18:19], v[14:15]
	v_add_f64 v[28:29], v[18:19], -v[14:15]
	v_add_f64 v[18:19], v[24:25], -v[18:19]
	;; [unrolled: 1-line block ×3, first 2 shown]
	s_delay_alu instid0(VALU_DEP_4)
	v_add_f64 v[24:25], v[26:27], v[24:25]
	scratch_load_b64 v[26:27], off, off offset:112 ; 8-byte Folded Reload
	s_waitcnt vmcnt(0)
	v_add_f64 v[26:27], v[26:27], v[12:13]
	ds_store_2addr_b64 v171, v[2:3], v[26:27] offset0:38 offset1:87
	v_fma_f64 v[2:3], v[12:13], s[16:17], v[26:27]
	v_fma_f64 v[26:27], v[6:7], s[22:23], v[4:5]
	v_mul_f64 v[6:7], v[6:7], s[22:23]
	v_fma_f64 v[4:5], v[16:17], s[24:25], -v[4:5]
	v_mul_f64 v[12:13], v[28:29], s[12:13]
	v_mul_f64 v[28:29], v[14:15], s[6:7]
	v_add_f64 v[26:27], v[26:27], v[2:3]
	v_fma_f64 v[6:7], v[16:17], s[20:21], -v[6:7]
	scratch_load_b64 v[16:17], off, off offset:104 ; 8-byte Folded Reload
	v_add_f64 v[4:5], v[4:5], v[2:3]
	v_fma_f64 v[28:29], v[18:19], s[14:15], -v[28:29]
	v_fma_f64 v[18:19], v[18:19], s[2:3], v[12:13]
	v_fma_f64 v[12:13], v[14:15], s[6:7], -v[12:13]
	v_add_f64 v[2:3], v[6:7], v[2:3]
	s_delay_alu instid0(VALU_DEP_4) | instskip(NEXT) | instid1(VALU_DEP_4)
	v_fma_f64 v[28:29], v[24:25], s[0:1], v[28:29]
	v_fma_f64 v[18:19], v[24:25], s[0:1], v[18:19]
	s_delay_alu instid0(VALU_DEP_4)
	v_fma_f64 v[6:7], v[24:25], s[0:1], v[12:13]
	v_add_f64 v[24:25], v[182:183], -v[118:119]
	v_add_f64 v[118:119], v[118:119], v[182:183]
	v_add_f64 v[36:37], v[28:29], v[4:5]
	;; [unrolled: 1-line block ×3, first 2 shown]
	v_add_f64 v[12:13], v[2:3], -v[6:7]
	v_add_f64 v[2:3], v[6:7], v[2:3]
	v_add_f64 v[6:7], v[76:77], v[188:189]
	ds_store_2addr_b64 v171, v[30:31], v[36:37] offset0:136 offset1:185
	ds_store_2addr_b64 v152, v[12:13], v[2:3] offset0:106 offset1:155
	v_add_f64 v[2:3], v[4:5], -v[28:29]
	v_add_f64 v[4:5], v[26:27], -v[18:19]
	;; [unrolled: 1-line block ×4, first 2 shown]
	ds_store_2addr_b64 v238, v[2:3], v[4:5] offset0:76 offset1:125
	v_add_f64 v[2:3], v[244:245], v[242:243]
	v_add_f64 v[4:5], v[246:247], v[78:79]
	v_add_f64 v[30:31], v[24:25], -v[18:19]
	v_add_f64 v[28:29], v[24:25], v[18:19]
	v_add_f64 v[24:25], v[26:27], -v[24:25]
	v_add_f64 v[14:15], v[2:3], -v[6:7]
	v_add_f64 v[12:13], v[4:5], v[2:3]
	v_mul_f64 v[30:31], v[30:31], s[12:13]
	v_add_f64 v[2:3], v[4:5], -v[2:3]
	v_add_f64 v[28:29], v[28:29], v[26:27]
	v_mul_f64 v[14:15], v[14:15], s[18:19]
	v_add_f64 v[12:13], v[6:7], v[12:13]
	v_add_f64 v[6:7], v[6:7], -v[4:5]
	v_add_f64 v[4:5], v[18:19], -v[26:27]
	v_fma_f64 v[38:39], v[24:25], s[2:3], v[30:31]
	v_add_f64 v[18:19], v[158:159], -v[86:87]
	v_add_f64 v[26:27], v[198:199], -v[116:117]
	v_fma_f64 v[36:37], v[6:7], s[22:23], v[14:15]
	v_mul_f64 v[6:7], v[6:7], s[22:23]
	v_fma_f64 v[38:39], v[28:29], s[0:1], v[38:39]
	s_delay_alu instid0(VALU_DEP_2)
	v_fma_f64 v[6:7], v[2:3], s[20:21], -v[6:7]
	v_fma_f64 v[2:3], v[2:3], s[24:25], -v[14:15]
	v_mul_f64 v[14:15], v[4:5], s[6:7]
	v_fma_f64 v[4:5], v[4:5], s[6:7], -v[30:31]
	s_waitcnt vmcnt(0)
	v_add_f64 v[16:17], v[16:17], v[12:13]
	s_delay_alu instid0(VALU_DEP_3) | instskip(NEXT) | instid1(VALU_DEP_3)
	v_fma_f64 v[14:15], v[24:25], s[14:15], -v[14:15]
	v_fma_f64 v[4:5], v[28:29], s[0:1], v[4:5]
	v_add_f64 v[24:25], v[110:111], -v[202:203]
	s_delay_alu instid0(VALU_DEP_4) | instskip(NEXT) | instid1(VALU_DEP_2)
	v_fma_f64 v[12:13], v[12:13], s[16:17], v[16:17]
	v_add_f64 v[30:31], v[24:25], -v[18:19]
	s_delay_alu instid0(VALU_DEP_2)
	v_add_f64 v[36:37], v[36:37], v[12:13]
	v_add_f64 v[6:7], v[6:7], v[12:13]
	;; [unrolled: 1-line block ×3, first 2 shown]
	v_fma_f64 v[12:13], v[28:29], s[0:1], v[14:15]
	v_add_f64 v[28:29], v[24:25], v[18:19]
	v_add_f64 v[24:25], v[26:27], -v[24:25]
	v_mul_f64 v[30:31], v[30:31], s[12:13]
	v_add_f64 v[41:42], v[38:39], v[36:37]
	v_add_f64 v[14:15], v[12:13], v[2:3]
	v_add_f64 v[2:3], v[2:3], -v[12:13]
	v_add_f64 v[28:29], v[28:29], v[26:27]
	v_fma_f64 v[45:46], v[24:25], s[2:3], v[30:31]
	ds_store_2addr_b64 v156, v[16:17], v[41:42] offset0:174 offset1:223
	v_add_f64 v[16:17], v[6:7], -v[4:5]
	v_add_f64 v[4:5], v[4:5], v[6:7]
	v_add_f64 v[6:7], v[146:147], v[252:253]
	v_fma_f64 v[45:46], v[28:29], s[0:1], v[45:46]
	ds_store_2addr_b64 v157, v[14:15], v[16:17] offset0:16 offset1:65
	scratch_load_b64 v[16:17], off, off offset:96 ; 8-byte Folded Reload
	ds_store_2addr_b64 v157, v[4:5], v[2:3] offset0:114 offset1:163
	v_add_f64 v[2:3], v[200:201], v[126:127]
	v_add_f64 v[4:5], v[184:185], v[222:223]
	s_delay_alu instid0(VALU_DEP_2) | instskip(NEXT) | instid1(VALU_DEP_2)
	v_add_f64 v[14:15], v[2:3], -v[6:7]
	v_add_f64 v[12:13], v[4:5], v[2:3]
	v_add_f64 v[2:3], v[4:5], -v[2:3]
	s_delay_alu instid0(VALU_DEP_3) | instskip(NEXT) | instid1(VALU_DEP_3)
	v_mul_f64 v[14:15], v[14:15], s[18:19]
	v_add_f64 v[12:13], v[6:7], v[12:13]
	v_add_f64 v[6:7], v[6:7], -v[4:5]
	v_add_f64 v[4:5], v[18:19], -v[26:27]
	;; [unrolled: 1-line block ×4, first 2 shown]
	s_delay_alu instid0(VALU_DEP_4) | instskip(SKIP_1) | instid1(VALU_DEP_1)
	v_fma_f64 v[41:42], v[6:7], s[22:23], v[14:15]
	v_mul_f64 v[6:7], v[6:7], s[22:23]
	v_fma_f64 v[6:7], v[2:3], s[20:21], -v[6:7]
	v_fma_f64 v[2:3], v[2:3], s[24:25], -v[14:15]
	v_mul_f64 v[14:15], v[4:5], s[6:7]
	v_fma_f64 v[4:5], v[4:5], s[6:7], -v[30:31]
	s_delay_alu instid0(VALU_DEP_2) | instskip(NEXT) | instid1(VALU_DEP_2)
	v_fma_f64 v[14:15], v[24:25], s[14:15], -v[14:15]
	v_fma_f64 v[4:5], v[28:29], s[0:1], v[4:5]
	v_add_f64 v[24:25], v[218:219], -v[134:135]
	s_delay_alu instid0(VALU_DEP_1) | instskip(NEXT) | instid1(VALU_DEP_1)
	v_add_f64 v[30:31], v[24:25], -v[18:19]
	v_mul_f64 v[30:31], v[30:31], s[12:13]
	s_waitcnt vmcnt(0)
	v_add_f64 v[16:17], v[16:17], v[12:13]
	s_delay_alu instid0(VALU_DEP_1) | instskip(NEXT) | instid1(VALU_DEP_1)
	v_fma_f64 v[12:13], v[12:13], s[16:17], v[16:17]
	v_add_f64 v[41:42], v[41:42], v[12:13]
	v_add_f64 v[6:7], v[6:7], v[12:13]
	;; [unrolled: 1-line block ×3, first 2 shown]
	v_fma_f64 v[12:13], v[28:29], s[0:1], v[14:15]
	v_add_f64 v[28:29], v[24:25], v[18:19]
	v_add_f64 v[24:25], v[26:27], -v[24:25]
	v_add_f64 v[47:48], v[45:46], v[41:42]
	s_delay_alu instid0(VALU_DEP_4)
	v_add_f64 v[14:15], v[12:13], v[2:3]
	v_add_f64 v[2:3], v[2:3], -v[12:13]
	v_add_f64 v[28:29], v[28:29], v[26:27]
	v_fma_f64 v[49:50], v[24:25], s[2:3], v[30:31]
	ds_store_2addr_b64 v161, v[16:17], v[47:48] offset0:5 offset1:54
	v_add_f64 v[16:17], v[6:7], -v[4:5]
	v_add_f64 v[4:5], v[4:5], v[6:7]
	v_add_f64 v[6:7], v[71:72], v[214:215]
	v_fma_f64 v[49:50], v[28:29], s[0:1], v[49:50]
	ds_store_2addr_b64 v161, v[14:15], v[16:17] offset0:103 offset1:152
	scratch_load_b64 v[16:17], off, off offset:88 ; 8-byte Folded Reload
	ds_store_2addr_b64 v161, v[4:5], v[2:3] offset0:201 offset1:250
	v_add_f64 v[2:3], v[69:70], v[66:67]
	v_add_f64 v[4:5], v[212:213], v[224:225]
	s_delay_alu instid0(VALU_DEP_2) | instskip(NEXT) | instid1(VALU_DEP_2)
	v_add_f64 v[14:15], v[2:3], -v[6:7]
	v_add_f64 v[12:13], v[4:5], v[2:3]
	v_add_f64 v[2:3], v[4:5], -v[2:3]
	s_delay_alu instid0(VALU_DEP_3) | instskip(NEXT) | instid1(VALU_DEP_3)
	v_mul_f64 v[14:15], v[14:15], s[18:19]
	v_add_f64 v[12:13], v[6:7], v[12:13]
	v_add_f64 v[6:7], v[6:7], -v[4:5]
	v_add_f64 v[4:5], v[18:19], -v[26:27]
	;; [unrolled: 1-line block ×4, first 2 shown]
	s_delay_alu instid0(VALU_DEP_4) | instskip(SKIP_1) | instid1(VALU_DEP_1)
	v_fma_f64 v[47:48], v[6:7], s[22:23], v[14:15]
	v_mul_f64 v[6:7], v[6:7], s[22:23]
	v_fma_f64 v[6:7], v[2:3], s[20:21], -v[6:7]
	v_fma_f64 v[2:3], v[2:3], s[24:25], -v[14:15]
	v_mul_f64 v[14:15], v[4:5], s[6:7]
	v_fma_f64 v[4:5], v[4:5], s[6:7], -v[30:31]
	s_delay_alu instid0(VALU_DEP_2) | instskip(NEXT) | instid1(VALU_DEP_2)
	v_fma_f64 v[14:15], v[24:25], s[14:15], -v[14:15]
	v_fma_f64 v[4:5], v[28:29], s[0:1], v[4:5]
	v_add_f64 v[24:25], v[62:63], -v[220:221]
	s_delay_alu instid0(VALU_DEP_1) | instskip(NEXT) | instid1(VALU_DEP_1)
	v_add_f64 v[30:31], v[24:25], -v[18:19]
	v_mul_f64 v[30:31], v[30:31], s[12:13]
	s_waitcnt vmcnt(0)
	v_add_f64 v[16:17], v[16:17], v[12:13]
	s_delay_alu instid0(VALU_DEP_1) | instskip(NEXT) | instid1(VALU_DEP_1)
	v_fma_f64 v[12:13], v[12:13], s[16:17], v[16:17]
	v_add_f64 v[47:48], v[47:48], v[12:13]
	v_add_f64 v[6:7], v[6:7], v[12:13]
	;; [unrolled: 1-line block ×3, first 2 shown]
	v_fma_f64 v[12:13], v[28:29], s[0:1], v[14:15]
	v_add_f64 v[28:29], v[24:25], v[18:19]
	v_add_f64 v[24:25], v[26:27], -v[24:25]
	v_add_f64 v[51:52], v[49:50], v[47:48]
	s_delay_alu instid0(VALU_DEP_4)
	v_add_f64 v[14:15], v[12:13], v[2:3]
	v_add_f64 v[2:3], v[2:3], -v[12:13]
	v_add_f64 v[28:29], v[28:29], v[26:27]
	v_fma_f64 v[53:54], v[24:25], s[2:3], v[30:31]
	ds_store_2addr_b64 v160, v[16:17], v[51:52] offset0:92 offset1:141
	v_add_f64 v[16:17], v[6:7], -v[4:5]
	v_add_f64 v[4:5], v[4:5], v[6:7]
	v_add_f64 v[6:7], v[216:217], v[64:65]
	v_fma_f64 v[53:54], v[28:29], s[0:1], v[53:54]
	ds_store_2addr_b64 v160, v[14:15], v[16:17] offset0:190 offset1:239
	scratch_load_b64 v[16:17], off, off offset:80 ; 8-byte Folded Reload
	ds_store_2addr_b64 v168, v[4:5], v[2:3] offset0:32 offset1:81
	v_add_f64 v[2:3], v[206:207], v[179:180]
	v_add_f64 v[4:5], v[226:227], v[130:131]
	s_delay_alu instid0(VALU_DEP_2) | instskip(NEXT) | instid1(VALU_DEP_2)
	v_add_f64 v[14:15], v[2:3], -v[6:7]
	v_add_f64 v[12:13], v[4:5], v[2:3]
	v_add_f64 v[2:3], v[4:5], -v[2:3]
	s_delay_alu instid0(VALU_DEP_3) | instskip(NEXT) | instid1(VALU_DEP_3)
	v_mul_f64 v[14:15], v[14:15], s[18:19]
	v_add_f64 v[12:13], v[6:7], v[12:13]
	v_add_f64 v[6:7], v[6:7], -v[4:5]
	v_add_f64 v[4:5], v[18:19], -v[26:27]
	;; [unrolled: 1-line block ×5, first 2 shown]
	v_fma_f64 v[51:52], v[6:7], s[22:23], v[14:15]
	v_mul_f64 v[6:7], v[6:7], s[22:23]
	s_delay_alu instid0(VALU_DEP_1) | instskip(SKIP_3) | instid1(VALU_DEP_2)
	v_fma_f64 v[6:7], v[2:3], s[20:21], -v[6:7]
	v_fma_f64 v[2:3], v[2:3], s[24:25], -v[14:15]
	v_mul_f64 v[14:15], v[4:5], s[6:7]
	v_fma_f64 v[4:5], v[4:5], s[6:7], -v[30:31]
	v_fma_f64 v[14:15], v[24:25], s[14:15], -v[14:15]
	s_delay_alu instid0(VALU_DEP_2) | instskip(SKIP_1) | instid1(VALU_DEP_1)
	v_fma_f64 v[4:5], v[28:29], s[0:1], v[4:5]
	v_add_f64 v[24:25], v[140:141], -v[142:143]
	v_add_f64 v[30:31], v[24:25], -v[18:19]
	s_delay_alu instid0(VALU_DEP_1) | instskip(SKIP_2) | instid1(VALU_DEP_1)
	v_mul_f64 v[30:31], v[30:31], s[12:13]
	s_waitcnt vmcnt(0)
	v_add_f64 v[16:17], v[16:17], v[12:13]
	v_fma_f64 v[12:13], v[12:13], s[16:17], v[16:17]
	s_delay_alu instid0(VALU_DEP_1)
	v_add_f64 v[51:52], v[51:52], v[12:13]
	v_add_f64 v[6:7], v[6:7], v[12:13]
	;; [unrolled: 1-line block ×3, first 2 shown]
	v_fma_f64 v[12:13], v[28:29], s[0:1], v[14:15]
	v_add_f64 v[28:29], v[24:25], v[18:19]
	v_add_f64 v[24:25], v[26:27], -v[24:25]
	v_add_f64 v[43:44], v[53:54], v[51:52]
	s_delay_alu instid0(VALU_DEP_4)
	v_add_f64 v[14:15], v[12:13], v[2:3]
	v_add_f64 v[2:3], v[2:3], -v[12:13]
	v_add_f64 v[28:29], v[28:29], v[26:27]
	v_fma_f64 v[55:56], v[24:25], s[2:3], v[30:31]
	ds_store_2addr_b64 v181, v[16:17], v[43:44] offset0:179 offset1:228
	v_add_f64 v[16:17], v[6:7], -v[4:5]
	v_add_f64 v[4:5], v[4:5], v[6:7]
	v_add_f64 v[6:7], v[190:191], v[194:195]
	v_fma_f64 v[55:56], v[28:29], s[0:1], v[55:56]
	ds_store_2addr_b64 v169, v[14:15], v[16:17] offset0:21 offset1:70
	scratch_load_b64 v[16:17], off, off offset:72 ; 8-byte Folded Reload
	ds_store_2addr_b64 v169, v[4:5], v[2:3] offset0:119 offset1:168
	v_add_f64 v[2:3], v[74:75], v[230:231]
	v_add_f64 v[4:5], v[124:125], v[104:105]
	s_delay_alu instid0(VALU_DEP_2) | instskip(NEXT) | instid1(VALU_DEP_2)
	v_add_f64 v[14:15], v[2:3], -v[6:7]
	v_add_f64 v[12:13], v[4:5], v[2:3]
	v_add_f64 v[2:3], v[4:5], -v[2:3]
	s_delay_alu instid0(VALU_DEP_3) | instskip(NEXT) | instid1(VALU_DEP_3)
	v_mul_f64 v[14:15], v[14:15], s[18:19]
	v_add_f64 v[12:13], v[6:7], v[12:13]
	v_add_f64 v[6:7], v[6:7], -v[4:5]
	v_add_f64 v[4:5], v[18:19], -v[26:27]
	v_add_f64 v[18:19], v[96:97], v[10:11]
	s_delay_alu instid0(VALU_DEP_3) | instskip(SKIP_1) | instid1(VALU_DEP_1)
	v_fma_f64 v[43:44], v[6:7], s[22:23], v[14:15]
	v_mul_f64 v[6:7], v[6:7], s[22:23]
	v_fma_f64 v[6:7], v[2:3], s[20:21], -v[6:7]
	v_fma_f64 v[2:3], v[2:3], s[24:25], -v[14:15]
	v_fma_f64 v[14:15], v[4:5], s[6:7], -v[30:31]
	v_mul_f64 v[4:5], v[4:5], s[6:7]
	s_delay_alu instid0(VALU_DEP_1) | instskip(NEXT) | instid1(VALU_DEP_1)
	v_fma_f64 v[4:5], v[24:25], s[14:15], -v[4:5]
	v_fma_f64 v[4:5], v[28:29], s[0:1], v[4:5]
	s_waitcnt vmcnt(0)
	v_add_f64 v[16:17], v[16:17], v[12:13]
	s_delay_alu instid0(VALU_DEP_1) | instskip(NEXT) | instid1(VALU_DEP_1)
	v_fma_f64 v[12:13], v[12:13], s[16:17], v[16:17]
	v_add_f64 v[43:44], v[43:44], v[12:13]
	v_add_f64 v[6:7], v[6:7], v[12:13]
	;; [unrolled: 1-line block ×3, first 2 shown]
	v_fma_f64 v[12:13], v[28:29], s[0:1], v[14:15]
	s_delay_alu instid0(VALU_DEP_4) | instskip(NEXT) | instid1(VALU_DEP_2)
	v_add_f64 v[57:58], v[55:56], v[43:44]
	v_add_f64 v[14:15], v[6:7], -v[12:13]
	v_add_f64 v[6:7], v[12:13], v[6:7]
	v_add_f64 v[12:13], v[51:52], -v[53:54]
	v_add_nc_u32_e32 v52, 0x3800, v254
	ds_store_2addr_b64 v153, v[16:17], v[57:58] offset0:10 offset1:59
	v_add_f64 v[16:17], v[4:5], v[2:3]
	v_add_f64 v[2:3], v[2:3], -v[4:5]
	v_add_f64 v[4:5], v[36:37], -v[38:39]
	ds_store_2addr_b64 v153, v[16:17], v[14:15] offset0:108 offset1:157
	ds_store_2addr_b64 v153, v[6:7], v[2:3] offset0:206 offset1:255
	v_add_f64 v[6:7], v[41:42], -v[45:46]
	v_add_f64 v[14:15], v[43:44], -v[55:56]
	ds_store_b64 v113, v[4:5] offset:7840
	ds_store_b64 v149, v[6:7] offset:10584
	;; [unrolled: 1-line block ×5, first 2 shown]
	s_waitcnt lgkmcnt(0)
	s_barrier
	buffer_gl0_inv
	ds_load_b64 v[4:5], v73
	v_add_f64 v[2:3], v[144:145], v[90:91]
	v_add_f64 v[90:91], v[248:249], -v[20:21]
	v_add_f64 v[144:145], v[188:189], -v[76:77]
	s_waitcnt lgkmcnt(0)
	scratch_store_b64 off, v[4:5], off offset:72 ; 8-byte Folded Spill
	ds_load_b64 v[4:5], v254
	v_add_f64 v[16:17], v[2:3], v[88:89]
	v_add_f64 v[100:101], v[94:95], -v[2:3]
	s_waitcnt lgkmcnt(0)
	scratch_store_b64 off, v[4:5], off offset:120 ; 8-byte Folded Spill
	ds_load_b64 v[4:5], v61
	v_add_f64 v[98:99], v[2:3], -v[88:89]
	v_add_f64 v[2:3], v[96:97], -v[10:11]
	;; [unrolled: 1-line block ×3, first 2 shown]
	v_add_f64 v[104:105], v[18:19], v[90:91]
	v_add_nc_u32_e32 v61, 0x1800, v254
	s_waitcnt lgkmcnt(0)
	scratch_store_b64 off, v[4:5], off offset:112 ; 8-byte Folded Spill
	ds_load_b64 v[4:5], v85
	v_add_f64 v[16:17], v[94:95], v[16:17]
	v_mul_f64 v[2:3], v[2:3], s[12:13]
	s_waitcnt lgkmcnt(0)
	scratch_store_b64 off, v[4:5], off offset:104 ; 8-byte Folded Spill
	ds_load_b64 v[4:5], v84
	v_add_f64 v[84:85], v[162:163], v[208:209]
	s_waitcnt lgkmcnt(0)
	scratch_store_b64 off, v[4:5], off offset:96 ; 8-byte Folded Spill
	ds_load_b64 v[4:5], v138
	v_add_f64 v[106:107], v[0:1], v[16:17]
	v_mul_f64 v[0:1], v[100:101], s[22:23]
	s_waitcnt lgkmcnt(0)
	scratch_store_b64 off, v[4:5], off offset:88 ; 8-byte Folded Spill
	ds_load_b64 v[4:5], v139
	s_waitcnt lgkmcnt(0)
	scratch_store_b64 off, v[4:5], off offset:80 ; 8-byte Folded Spill
	ds_load_2addr_b64 v[4:7], v171 offset0:87 offset1:136
	v_fma_f64 v[10:11], v[98:99], s[20:21], -v[0:1]
	v_fma_f64 v[0:1], v[16:17], s[16:17], v[106:107]
	v_fma_f64 v[16:17], v[92:93], s[6:7], -v[2:3]
	s_waitcnt lgkmcnt(0)
	scratch_store_b128 off, v[4:7], off offset:216 ; 16-byte Folded Spill
	ds_load_2addr_b64 v[28:31], v238 offset0:125 offset1:174
	ds_load_2addr_b64 v[4:7], v255 offset0:5 offset1:54
	;; [unrolled: 1-line block ×3, first 2 shown]
	s_waitcnt lgkmcnt(1)
	scratch_store_b128 off, v[4:7], off offset:144 ; 16-byte Folded Spill
	ds_load_2addr_b64 v[4:7], v60 offset0:179 offset1:228
	v_add_f64 v[10:11], v[10:11], v[0:1]
	v_fma_f64 v[16:17], v[104:105], s[0:1], v[16:17]
	s_waitcnt lgkmcnt(0)
	scratch_store_b128 off, v[4:7], off offset:200 ; 16-byte Folded Spill
	ds_load_2addr_b64 v[24:27], v115 offset0:89 offset1:138
	ds_load_2addr_b64 v[4:7], v114 offset0:95 offset1:144
	;; [unrolled: 1-line block ×3, first 2 shown]
	v_add_f64 v[114:115], v[244:245], -v[242:243]
	s_waitcnt lgkmcnt(1)
	scratch_store_b128 off, v[4:7], off offset:160 ; 16-byte Folded Spill
	s_waitcnt lgkmcnt(0)
	scratch_store_b128 off, v[20:23], off offset:128 ; 16-byte Folded Spill
	ds_load_2addr_b64 v[4:7], v172 offset0:59 offset1:108
	v_add_f64 v[250:251], v[16:17], v[10:11]
	v_add_f64 v[108:109], v[10:11], -v[16:17]
	s_waitcnt lgkmcnt(0)
	scratch_store_b128 off, v[4:7], off offset:264 ; 16-byte Folded Spill
	ds_load_2addr_b64 v[16:19], v171 offset0:185 offset1:234
	ds_load_2addr_b64 v[4:7], v255 offset0:103 offset1:152
	;; [unrolled: 1-line block ×3, first 2 shown]
	s_waitcnt lgkmcnt(1)
	scratch_store_b128 off, v[4:7], off offset:328 ; 16-byte Folded Spill
	ds_load_2addr_b64 v[4:7], v52 offset0:21 offset1:70
	s_waitcnt lgkmcnt(0)
	scratch_store_b128 off, v[4:7], off offset:344 ; 16-byte Folded Spill
	v_add_nc_u32_e32 v4, 0x2c00, v254
	ds_load_2addr_b64 v[36:39], v4 offset0:111 offset1:160
	ds_load_2addr_b64 v[44:47], v172 offset0:157 offset1:206
	;; [unrolled: 1-line block ×8, first 2 shown]
	s_waitcnt lgkmcnt(0)
	s_waitcnt_vscnt null, 0x0
	s_barrier
	buffer_gl0_inv
	ds_store_2addr_b64 v152, v[250:251], v[108:109] offset0:106 offset1:155
	v_add_f64 v[108:109], v[175:176], v[128:129]
	v_add_f64 v[128:129], v[246:247], -v[78:79]
	v_mov_b32_e32 v175, v171
	s_delay_alu instid0(VALU_DEP_3) | instskip(SKIP_1) | instid1(VALU_DEP_4)
	v_add_f64 v[166:167], v[84:85], v[108:109]
	v_add_f64 v[188:189], v[108:109], -v[118:119]
	v_add_f64 v[242:243], v[144:145], -v[128:129]
	v_add_f64 v[238:239], v[144:145], v[128:129]
	v_add_f64 v[144:145], v[114:115], -v[144:145]
	v_add_f64 v[166:167], v[118:119], v[166:167]
	v_add_f64 v[118:119], v[118:119], -v[84:85]
	v_mul_f64 v[188:189], v[188:189], s[18:19]
	v_mul_f64 v[242:243], v[242:243], s[12:13]
	v_add_f64 v[238:239], v[238:239], v[114:115]
	v_add_f64 v[84:85], v[84:85], -v[108:109]
	v_add_f64 v[102:103], v[102:103], v[166:167]
	v_mul_f64 v[108:109], v[118:119], s[22:23]
	v_fma_f64 v[244:245], v[118:119], s[22:23], v[188:189]
	v_fma_f64 v[246:247], v[144:145], s[2:3], v[242:243]
	s_delay_alu instid0(VALU_DEP_4) | instskip(NEXT) | instid1(VALU_DEP_4)
	v_fma_f64 v[166:167], v[166:167], s[16:17], v[102:103]
	v_fma_f64 v[108:109], v[84:85], s[20:21], -v[108:109]
	v_fma_f64 v[84:85], v[84:85], s[24:25], -v[188:189]
	s_delay_alu instid0(VALU_DEP_4) | instskip(NEXT) | instid1(VALU_DEP_4)
	v_fma_f64 v[246:247], v[238:239], s[0:1], v[246:247]
	v_add_f64 v[244:245], v[244:245], v[166:167]
	s_delay_alu instid0(VALU_DEP_4) | instskip(NEXT) | instid1(VALU_DEP_4)
	v_add_f64 v[108:109], v[108:109], v[166:167]
	v_add_f64 v[84:85], v[84:85], v[166:167]
	s_delay_alu instid0(VALU_DEP_3) | instskip(SKIP_2) | instid1(VALU_DEP_1)
	v_add_f64 v[250:251], v[244:245], -v[246:247]
	ds_store_2addr_b64 v156, v[102:103], v[250:251] offset0:174 offset1:223
	v_add_f64 v[102:103], v[128:129], -v[114:115]
	v_fma_f64 v[114:115], v[102:103], s[6:7], -v[242:243]
	v_mul_f64 v[102:103], v[102:103], s[6:7]
	s_delay_alu instid0(VALU_DEP_2) | instskip(NEXT) | instid1(VALU_DEP_2)
	v_fma_f64 v[114:115], v[238:239], s[0:1], v[114:115]
	v_fma_f64 v[102:103], v[144:145], s[14:15], -v[102:103]
	s_delay_alu instid0(VALU_DEP_2) | instskip(NEXT) | instid1(VALU_DEP_2)
	v_add_f64 v[118:119], v[114:115], v[108:109]
	v_fma_f64 v[102:103], v[238:239], s[0:1], v[102:103]
	v_add_f64 v[108:109], v[108:109], -v[114:115]
	v_add_f64 v[114:115], v[184:185], -v[222:223]
	s_delay_alu instid0(VALU_DEP_3)
	v_add_f64 v[128:129], v[84:85], -v[102:103]
	v_add_f64 v[84:85], v[102:103], v[84:85]
	v_add_f64 v[102:103], v[158:159], v[86:87]
	;; [unrolled: 1-line block ×3, first 2 shown]
	ds_store_2addr_b64 v157, v[128:129], v[118:119] offset0:16 offset1:65
	ds_store_2addr_b64 v157, v[108:109], v[84:85] offset0:114 offset1:163
	v_add_f64 v[84:85], v[198:199], v[116:117]
	v_add_f64 v[118:119], v[252:253], -v[146:147]
	v_add_f64 v[108:109], v[200:201], -v[126:127]
	v_add_f64 v[116:117], v[202:203], v[110:111]
	v_add_f64 v[110:111], v[212:213], -v[224:225]
	v_add_f64 v[126:127], v[102:103], v[84:85]
	;; [unrolled: 2-line block ×3, first 2 shown]
	v_add_f64 v[128:129], v[84:85], -v[116:117]
	v_add_f64 v[84:85], v[102:103], -v[84:85]
	;; [unrolled: 1-line block ×3, first 2 shown]
	v_add_f64 v[126:127], v[116:117], v[126:127]
	v_add_f64 v[116:117], v[116:117], -v[102:103]
	v_mul_f64 v[146:147], v[146:147], s[12:13]
	v_add_f64 v[102:103], v[114:115], -v[108:109]
	v_mul_f64 v[128:129], v[128:129], s[18:19]
	v_add_f64 v[144:145], v[144:145], v[108:109]
	v_add_f64 v[132:133], v[196:197], v[126:127]
	v_mul_f64 v[108:109], v[116:117], s[22:23]
	v_fma_f64 v[162:163], v[118:119], s[2:3], v[146:147]
	v_fma_f64 v[114:115], v[102:103], s[6:7], -v[146:147]
	v_mul_f64 v[102:103], v[102:103], s[6:7]
	v_fma_f64 v[156:157], v[116:117], s[22:23], v[128:129]
	v_fma_f64 v[126:127], v[126:127], s[16:17], v[132:133]
	v_fma_f64 v[108:109], v[84:85], s[20:21], -v[108:109]
	v_fma_f64 v[84:85], v[84:85], s[24:25], -v[128:129]
	v_fma_f64 v[114:115], v[144:145], s[0:1], v[114:115]
	v_fma_f64 v[102:103], v[118:119], s[14:15], -v[102:103]
	v_fma_f64 v[162:163], v[144:145], s[0:1], v[162:163]
	v_add_f64 v[156:157], v[156:157], v[126:127]
	v_add_f64 v[108:109], v[108:109], v[126:127]
	;; [unrolled: 1-line block ×3, first 2 shown]
	v_fma_f64 v[102:103], v[144:145], s[0:1], v[102:103]
	s_delay_alu instid0(VALU_DEP_4) | instskip(NEXT) | instid1(VALU_DEP_4)
	v_add_f64 v[166:167], v[156:157], -v[162:163]
	v_add_f64 v[116:117], v[114:115], v[108:109]
	v_add_f64 v[108:109], v[108:109], -v[114:115]
	v_add_f64 v[114:115], v[134:135], v[218:219]
	;; [unrolled: 2-line block ×3, first 2 shown]
	v_add_f64 v[102:103], v[204:205], v[120:121]
	ds_store_2addr_b64 v161, v[132:133], v[166:167] offset0:5 offset1:54
	ds_store_2addr_b64 v161, v[118:119], v[116:117] offset0:103 offset1:152
	ds_store_2addr_b64 v161, v[108:109], v[84:85] offset0:201 offset1:250
	v_add_f64 v[84:85], v[173:174], v[177:178]
	v_add_f64 v[116:117], v[214:215], -v[71:72]
	v_add_f64 v[108:109], v[69:70], -v[66:67]
	s_delay_alu instid0(VALU_DEP_3) | instskip(NEXT) | instid1(VALU_DEP_3)
	v_add_f64 v[118:119], v[102:103], v[84:85]
	v_add_f64 v[128:129], v[116:117], -v[110:111]
	v_add_f64 v[120:121], v[84:85], -v[114:115]
	v_add_f64 v[126:127], v[116:117], v[110:111]
	v_add_f64 v[84:85], v[102:103], -v[84:85]
	v_add_f64 v[116:117], v[108:109], -v[116:117]
	v_add_f64 v[118:119], v[114:115], v[118:119]
	v_add_f64 v[114:115], v[114:115], -v[102:103]
	v_mul_f64 v[128:129], v[128:129], s[12:13]
	v_add_f64 v[102:103], v[110:111], -v[108:109]
	v_mul_f64 v[120:121], v[120:121], s[18:19]
	v_add_f64 v[126:127], v[126:127], v[108:109]
	v_add_f64 v[122:123], v[192:193], v[118:119]
	v_mul_f64 v[108:109], v[114:115], s[22:23]
	v_fma_f64 v[134:135], v[116:117], s[2:3], v[128:129]
	v_fma_f64 v[110:111], v[102:103], s[6:7], -v[128:129]
	v_mul_f64 v[102:103], v[102:103], s[6:7]
	v_fma_f64 v[132:133], v[114:115], s[22:23], v[120:121]
	v_fma_f64 v[118:119], v[118:119], s[16:17], v[122:123]
	v_fma_f64 v[108:109], v[84:85], s[20:21], -v[108:109]
	v_fma_f64 v[84:85], v[84:85], s[24:25], -v[120:121]
	v_fma_f64 v[110:111], v[126:127], s[0:1], v[110:111]
	v_fma_f64 v[102:103], v[116:117], s[14:15], -v[102:103]
	v_fma_f64 v[134:135], v[126:127], s[0:1], v[134:135]
	v_add_f64 v[132:133], v[132:133], v[118:119]
	v_add_f64 v[108:109], v[108:109], v[118:119]
	;; [unrolled: 1-line block ×3, first 2 shown]
	v_fma_f64 v[102:103], v[126:127], s[0:1], v[102:103]
	s_delay_alu instid0(VALU_DEP_4) | instskip(NEXT) | instid1(VALU_DEP_4)
	v_add_f64 v[138:139], v[132:133], -v[134:135]
	v_add_f64 v[114:115], v[110:111], v[108:109]
	v_add_f64 v[108:109], v[108:109], -v[110:111]
	v_add_f64 v[110:111], v[220:221], v[62:63]
	;; [unrolled: 2-line block ×3, first 2 shown]
	v_add_f64 v[102:103], v[206:207], -v[179:180]
	ds_store_2addr_b64 v160, v[122:123], v[138:139] offset0:92 offset1:141
	ds_store_2addr_b64 v160, v[116:117], v[114:115] offset0:190 offset1:239
	;; [unrolled: 1-line block ×3, first 2 shown]
	v_add_f64 v[84:85], v[210:211], v[234:235]
	v_add_f64 v[108:109], v[226:227], -v[130:131]
	v_add_f64 v[114:115], v[64:65], -v[216:217]
	s_delay_alu instid0(VALU_DEP_3) | instskip(SKIP_1) | instid1(VALU_DEP_3)
	v_add_f64 v[116:117], v[86:87], v[84:85]
	v_add_f64 v[118:119], v[84:85], -v[110:111]
	v_add_f64 v[126:127], v[114:115], -v[108:109]
	v_add_f64 v[122:123], v[114:115], v[108:109]
	v_add_f64 v[84:85], v[86:87], -v[84:85]
	v_add_f64 v[114:115], v[102:103], -v[114:115]
	v_add_f64 v[116:117], v[110:111], v[116:117]
	v_add_f64 v[110:111], v[110:111], -v[86:87]
	v_mul_f64 v[126:127], v[126:127], s[12:13]
	v_add_f64 v[86:87], v[108:109], -v[102:103]
	v_mul_f64 v[118:119], v[118:119], s[18:19]
	v_add_f64 v[122:123], v[122:123], v[102:103]
	v_add_f64 v[120:121], v[240:241], v[116:117]
	v_mul_f64 v[102:103], v[110:111], s[22:23]
	v_fma_f64 v[130:131], v[114:115], s[2:3], v[126:127]
	v_fma_f64 v[108:109], v[86:87], s[6:7], -v[126:127]
	v_mul_f64 v[86:87], v[86:87], s[6:7]
	v_fma_f64 v[128:129], v[110:111], s[22:23], v[118:119]
	v_fma_f64 v[116:117], v[116:117], s[16:17], v[120:121]
	v_fma_f64 v[102:103], v[84:85], s[20:21], -v[102:103]
	v_fma_f64 v[84:85], v[84:85], s[24:25], -v[118:119]
	v_fma_f64 v[108:109], v[122:123], s[0:1], v[108:109]
	v_fma_f64 v[86:87], v[114:115], s[14:15], -v[86:87]
	v_fma_f64 v[130:131], v[122:123], s[0:1], v[130:131]
	v_add_f64 v[128:129], v[128:129], v[116:117]
	v_add_f64 v[102:103], v[102:103], v[116:117]
	;; [unrolled: 1-line block ×3, first 2 shown]
	v_fma_f64 v[86:87], v[122:123], s[0:1], v[86:87]
	s_delay_alu instid0(VALU_DEP_4) | instskip(NEXT) | instid1(VALU_DEP_4)
	v_add_f64 v[136:137], v[128:129], -v[130:131]
	v_add_f64 v[110:111], v[108:109], v[102:103]
	v_add_f64 v[102:103], v[102:103], -v[108:109]
	v_add_f64 v[108:109], v[124:125], -v[154:155]
	;; [unrolled: 1-line block ×3, first 2 shown]
	v_add_f64 v[84:85], v[86:87], v[84:85]
	v_add_f64 v[86:87], v[80:81], v[82:83]
	ds_store_2addr_b64 v181, v[120:121], v[136:137] offset0:179 offset1:228
	ds_store_2addr_b64 v169, v[114:115], v[110:111] offset0:21 offset1:70
	;; [unrolled: 1-line block ×3, first 2 shown]
	v_add_f64 v[84:85], v[32:33], v[186:187]
	v_add_f64 v[114:115], v[194:195], -v[190:191]
	v_add_f64 v[102:103], v[74:75], -v[230:231]
	v_add_f64 v[110:111], v[142:143], v[140:141]
	s_delay_alu instid0(VALU_DEP_4) | instskip(NEXT) | instid1(VALU_DEP_4)
	v_add_f64 v[116:117], v[86:87], v[84:85]
	v_add_f64 v[126:127], v[114:115], -v[108:109]
	v_add_f64 v[122:123], v[114:115], v[108:109]
	s_delay_alu instid0(VALU_DEP_4)
	v_add_f64 v[118:119], v[84:85], -v[110:111]
	v_add_f64 v[84:85], v[86:87], -v[84:85]
	;; [unrolled: 1-line block ×3, first 2 shown]
	v_add_f64 v[116:117], v[110:111], v[116:117]
	v_add_f64 v[110:111], v[110:111], -v[86:87]
	v_mul_f64 v[126:127], v[126:127], s[12:13]
	v_add_f64 v[86:87], v[108:109], -v[102:103]
	v_mul_f64 v[118:119], v[118:119], s[18:19]
	v_add_f64 v[122:123], v[122:123], v[102:103]
	v_add_f64 v[120:121], v[164:165], v[116:117]
	v_mul_f64 v[102:103], v[110:111], s[22:23]
	v_fma_f64 v[138:139], v[114:115], s[2:3], v[126:127]
	v_fma_f64 v[108:109], v[86:87], s[6:7], -v[126:127]
	v_mul_f64 v[86:87], v[86:87], s[6:7]
	v_fma_f64 v[136:137], v[110:111], s[22:23], v[118:119]
	v_fma_f64 v[116:117], v[116:117], s[16:17], v[120:121]
	v_fma_f64 v[102:103], v[84:85], s[20:21], -v[102:103]
	v_fma_f64 v[84:85], v[84:85], s[24:25], -v[118:119]
	v_fma_f64 v[138:139], v[122:123], s[0:1], v[138:139]
	v_fma_f64 v[86:87], v[114:115], s[14:15], -v[86:87]
	v_fma_f64 v[108:109], v[122:123], s[0:1], v[108:109]
	v_add_f64 v[136:137], v[136:137], v[116:117]
	v_add_f64 v[102:103], v[102:103], v[116:117]
	;; [unrolled: 1-line block ×3, first 2 shown]
	v_fma_f64 v[86:87], v[122:123], s[0:1], v[86:87]
	s_delay_alu instid0(VALU_DEP_4) | instskip(NEXT) | instid1(VALU_DEP_4)
	v_add_f64 v[140:141], v[136:137], -v[138:139]
	v_add_f64 v[110:111], v[108:109], v[102:103]
	v_add_f64 v[102:103], v[102:103], -v[108:109]
	s_delay_alu instid0(VALU_DEP_4)
	v_add_f64 v[114:115], v[84:85], -v[86:87]
	v_add_f64 v[84:85], v[86:87], v[84:85]
	ds_store_2addr_b64 v153, v[120:121], v[140:141] offset0:10 offset1:59
	ds_store_2addr_b64 v153, v[114:115], v[110:111] offset0:108 offset1:157
	;; [unrolled: 1-line block ×3, first 2 shown]
	s_clause 0x1
	scratch_load_b64 v[32:33], off, off offset:176
	scratch_load_b64 v[34:35], off, off offset:280
	s_waitcnt vmcnt(0)
	v_add_f64 v[84:85], v[34:35], v[32:33]
	s_clause 0x1
	scratch_load_b64 v[32:33], off, off offset:64
	scratch_load_b64 v[34:35], off, off offset:256
	s_waitcnt vmcnt(0)
	v_add_f64 v[86:87], v[32:33], v[34:35]
	s_clause 0x1
	scratch_load_b64 v[32:33], off, off offset:40
	scratch_load_b64 v[34:35], off, off offset:232
	v_add_f64 v[116:117], v[86:87], v[84:85]
	s_waitcnt vmcnt(0)
	v_add_f64 v[102:103], v[34:35], -v[32:33]
	s_clause 0x1
	scratch_load_b64 v[32:33], off, off offset:48
	scratch_load_b64 v[34:35], off, off offset:240
	s_waitcnt vmcnt(0)
	v_add_f64 v[108:109], v[32:33], -v[34:35]
	s_clause 0x1
	scratch_load_b64 v[32:33], off, off offset:56
	scratch_load_b64 v[34:35], off, off offset:248
	s_waitcnt vmcnt(0)
	v_add_f64 v[110:111], v[34:35], v[32:33]
	s_clause 0x1
	scratch_load_b64 v[32:33], off, off offset:32
	scratch_load_b64 v[34:35], off, off offset:192
	v_add_f64 v[116:117], v[110:111], v[116:117]
	v_add_f64 v[120:121], v[84:85], -v[110:111]
	v_add_f64 v[110:111], v[110:111], -v[86:87]
	;; [unrolled: 1-line block ×4, first 2 shown]
	v_add_f64 v[118:119], v[232:233], v[116:117]
	v_mul_f64 v[120:121], v[120:121], s[18:19]
	s_delay_alu instid0(VALU_DEP_2) | instskip(NEXT) | instid1(VALU_DEP_2)
	v_fma_f64 v[116:117], v[116:117], s[16:17], v[118:119]
	v_fma_f64 v[126:127], v[110:111], s[22:23], v[120:121]
	s_delay_alu instid0(VALU_DEP_1) | instskip(SKIP_2) | instid1(VALU_DEP_1)
	v_add_f64 v[126:127], v[126:127], v[116:117]
	s_waitcnt vmcnt(0)
	v_add_f64 v[114:115], v[32:33], -v[34:35]
	v_add_f64 v[122:123], v[114:115], -v[108:109]
	v_add_f64 v[124:125], v[114:115], v[108:109]
	v_add_f64 v[114:115], v[102:103], -v[114:115]
	s_delay_alu instid0(VALU_DEP_3) | instskip(NEXT) | instid1(VALU_DEP_3)
	v_mul_f64 v[122:123], v[122:123], s[12:13]
	v_add_f64 v[124:125], v[124:125], v[102:103]
	v_mul_f64 v[102:103], v[110:111], s[22:23]
	s_delay_alu instid0(VALU_DEP_3) | instskip(SKIP_1) | instid1(VALU_DEP_3)
	v_fma_f64 v[108:109], v[86:87], s[6:7], -v[122:123]
	v_mul_f64 v[86:87], v[86:87], s[6:7]
	v_fma_f64 v[102:103], v[84:85], s[20:21], -v[102:103]
	v_fma_f64 v[84:85], v[84:85], s[24:25], -v[120:121]
	v_fma_f64 v[140:141], v[114:115], s[2:3], v[122:123]
	v_fma_f64 v[108:109], v[124:125], s[0:1], v[108:109]
	v_fma_f64 v[86:87], v[114:115], s[14:15], -v[86:87]
	v_add_f64 v[102:103], v[102:103], v[116:117]
	v_add_f64 v[84:85], v[84:85], v[116:117]
	v_fma_f64 v[140:141], v[124:125], s[0:1], v[140:141]
	s_delay_alu instid0(VALU_DEP_4) | instskip(NEXT) | instid1(VALU_DEP_4)
	v_fma_f64 v[86:87], v[124:125], s[0:1], v[86:87]
	v_add_f64 v[110:111], v[108:109], v[102:103]
	v_add_f64 v[102:103], v[102:103], -v[108:109]
	s_delay_alu instid0(VALU_DEP_4) | instskip(NEXT) | instid1(VALU_DEP_4)
	v_add_f64 v[142:143], v[126:127], -v[140:141]
	v_add_f64 v[114:115], v[84:85], -v[86:87]
	v_add_f64 v[84:85], v[86:87], v[84:85]
	v_add_f64 v[86:87], v[90:91], -v[96:97]
	v_mul_f64 v[90:91], v[92:93], s[6:7]
	ds_store_2addr_b64 v254, v[118:119], v[142:143] offset1:49
	ds_store_2addr_b64 v254, v[114:115], v[110:111] offset0:98 offset1:147
	ds_store_2addr_b64 v254, v[102:103], v[84:85] offset0:196 offset1:245
	v_add_f64 v[84:85], v[140:141], v[126:127]
	v_fma_f64 v[90:91], v[86:87], s[14:15], -v[90:91]
	v_fma_f64 v[2:3], v[86:87], s[2:3], v[2:3]
	v_mov_b32_e32 v140, v170
	ds_store_2addr_b64 v171, v[84:85], v[106:107] offset0:38 offset1:87
	v_add_f64 v[84:85], v[88:89], -v[94:95]
	v_fma_f64 v[2:3], v[104:105], s[0:1], v[2:3]
	s_delay_alu instid0(VALU_DEP_2) | instskip(NEXT) | instid1(VALU_DEP_1)
	v_mul_f64 v[84:85], v[84:85], s[18:19]
	v_fma_f64 v[88:89], v[100:101], s[22:23], v[84:85]
	v_fma_f64 v[84:85], v[98:99], s[24:25], -v[84:85]
	s_delay_alu instid0(VALU_DEP_2) | instskip(NEXT) | instid1(VALU_DEP_2)
	v_add_f64 v[86:87], v[88:89], v[0:1]
	v_add_f64 v[0:1], v[84:85], v[0:1]
	v_fma_f64 v[84:85], v[104:105], s[0:1], v[90:91]
	s_delay_alu instid0(VALU_DEP_3) | instskip(SKIP_1) | instid1(VALU_DEP_3)
	v_add_f64 v[90:91], v[86:87], -v[2:3]
	v_add_f64 v[2:3], v[2:3], v[86:87]
	v_add_f64 v[88:89], v[0:1], -v[84:85]
	v_add_f64 v[0:1], v[84:85], v[0:1]
	ds_store_2addr_b64 v171, v[90:91], v[88:89] offset0:136 offset1:185
	ds_store_2addr_b64 v170, v[0:1], v[2:3] offset0:76 offset1:125
	v_add_f64 v[0:1], v[246:247], v[244:245]
	v_add_f64 v[2:3], v[162:163], v[156:157]
	ds_store_b64 v113, v[0:1] offset:7840
	ds_store_b64 v149, v[2:3] offset:10584
	v_add_f64 v[0:1], v[134:135], v[132:133]
	v_add_f64 v[2:3], v[130:131], v[128:129]
	ds_store_b64 v148, v[0:1] offset:13328
	ds_store_b64 v151, v[2:3] offset:16072
	v_add_f64 v[0:1], v[138:139], v[136:137]
	ds_store_b64 v150, v[0:1] offset:18816
	s_waitcnt lgkmcnt(0)
	s_barrier
	buffer_gl0_inv
	s_and_saveexec_b32 s26, vcc_lo
	s_cbranch_execz .LBB0_15
; %bb.14:
	v_add_co_u32 v0, s26, s4, v112
	s_delay_alu instid0(VALU_DEP_1)
	v_add_co_ci_u32_e64 v1, null, s5, 0, s26
	scratch_load_b32 v206, off, off offset:320 ; 4-byte Folded Reload
	v_add_co_u32 v102, vcc_lo, 0x1500, v0
	v_add_co_ci_u32_e32 v103, vcc_lo, 0, v1, vcc_lo
	ds_load_2addr_b64 v[88:91], v140 offset0:125 offset1:174
	v_dual_mov_b32 v107, 0 :: v_dual_add_nc_u32 v156, 0x2800, v254
	s_clause 0x1
	global_load_b128 v[84:87], v[102:103], off offset:16
	global_load_b128 v[166:169], v[102:103], off offset:32
	v_add_nc_u32_e32 v144, 0x1800, v254
	v_add_nc_u32_e32 v164, 0x3000, v254
	;; [unrolled: 1-line block ×5, first 2 shown]
	s_waitcnt vmcnt(2)
	v_mul_i32_i24_e32 v106, 6, v206
	s_waitcnt vmcnt(1) lgkmcnt(0)
	v_mul_f64 v[2:3], v[86:87], v[90:91]
	s_delay_alu instid0(VALU_DEP_1) | instskip(SKIP_1) | instid1(VALU_DEP_1)
	v_fma_f64 v[104:105], v[30:31], v[84:85], -v[2:3]
	v_mul_f64 v[2:3], v[84:85], v[90:91]
	v_fma_f64 v[98:99], v[30:31], v[86:87], v[2:3]
	v_lshlrev_b64 v[2:3], 4, v[106:107]
	s_delay_alu instid0(VALU_DEP_1) | instskip(NEXT) | instid1(VALU_DEP_2)
	v_add_co_u32 v100, vcc_lo, s4, v2
	v_add_co_ci_u32_e32 v101, vcc_lo, s5, v3, vcc_lo
	s_delay_alu instid0(VALU_DEP_2) | instskip(NEXT) | instid1(VALU_DEP_2)
	v_add_co_u32 v90, vcc_lo, 0x1000, v100
	v_add_co_ci_u32_e32 v91, vcc_lo, 0, v101, vcc_lo
	v_add_co_u32 v108, vcc_lo, 0x1500, v100
	v_add_co_ci_u32_e32 v109, vcc_lo, 0, v101, vcc_lo
	s_clause 0x1
	global_load_b128 v[82:85], v[90:91], off offset:1280
	global_load_b128 v[94:97], v[108:109], off offset:48
	s_waitcnt vmcnt(1)
	v_mul_f64 v[2:3], v[84:85], v[88:89]
	v_mul_f64 v[86:87], v[82:83], v[88:89]
	s_delay_alu instid0(VALU_DEP_2)
	v_fma_f64 v[82:83], v[28:29], v[82:83], -v[2:3]
	v_add_co_u32 v2, vcc_lo, 0x1540, v0
	v_add_co_ci_u32_e32 v3, vcc_lo, 0, v1, vcc_lo
	v_add_co_u32 v92, vcc_lo, 0x1000, v0
	v_add_co_ci_u32_e32 v93, vcc_lo, 0, v1, vcc_lo
	global_load_b128 v[0:3], v[2:3], off offset:16
	v_fma_f64 v[80:81], v[28:29], v[84:85], v[86:87]
	v_add_nc_u32_e32 v84, 0x3c00, v254
	global_load_b128 v[160:163], v[92:93], off offset:1344
	v_add_co_u32 v78, vcc_lo, 0x1540, v100
	v_add_co_ci_u32_e32 v79, vcc_lo, 0, v101, vcc_lo
	ds_load_2addr_b64 v[84:87], v84 offset0:89 offset1:138
	s_waitcnt vmcnt(1) lgkmcnt(0)
	v_mul_f64 v[88:89], v[2:3], v[86:87]
	s_delay_alu instid0(VALU_DEP_1) | instskip(SKIP_1) | instid1(VALU_DEP_1)
	v_fma_f64 v[152:153], v[26:27], v[0:1], -v[88:89]
	v_mul_f64 v[0:1], v[0:1], v[86:87]
	v_fma_f64 v[148:149], v[26:27], v[2:3], v[0:1]
	s_clause 0x1
	global_load_b128 v[0:3], v[90:91], off offset:1344
	global_load_b128 v[86:89], v[78:79], off offset:16
	s_waitcnt vmcnt(1)
	v_mul_f64 v[78:79], v[2:3], v[84:85]
	v_mul_f64 v[84:85], v[0:1], v[84:85]
	s_delay_alu instid0(VALU_DEP_2) | instskip(NEXT) | instid1(VALU_DEP_2)
	v_fma_f64 v[78:79], v[24:25], v[0:1], -v[78:79]
	v_fma_f64 v[76:77], v[24:25], v[2:3], v[84:85]
	s_clause 0x1
	global_load_b128 v[0:3], v[102:103], off offset:48
	global_load_b128 v[100:103], v[92:93], off offset:1280
	ds_load_2addr_b64 v[90:93], v156 offset0:43 offset1:92
	s_waitcnt vmcnt(1) lgkmcnt(0)
	v_mul_f64 v[84:85], v[2:3], v[92:93]
	s_delay_alu instid0(VALU_DEP_1) | instskip(SKIP_1) | instid1(VALU_DEP_1)
	v_fma_f64 v[158:159], v[14:15], v[0:1], -v[84:85]
	v_mul_f64 v[0:1], v[0:1], v[92:93]
	v_fma_f64 v[150:151], v[14:15], v[2:3], v[0:1]
	s_clause 0x1
	global_load_b128 v[0:3], v[108:109], off offset:32
	global_load_b128 v[112:115], v[108:109], off offset:16
	s_waitcnt vmcnt(1)
	v_mul_f64 v[74:75], v[2:3], v[90:91]
	v_mul_f64 v[84:85], v[0:1], v[90:91]
	s_delay_alu instid0(VALU_DEP_2) | instskip(SKIP_1) | instid1(VALU_DEP_3)
	v_fma_f64 v[74:75], v[12:13], v[0:1], -v[74:75]
	v_add_nc_u32_e32 v0, 0x4400, v254
	v_fma_f64 v[72:73], v[12:13], v[2:3], v[84:85]
	ds_load_2addr_b64 v[0:3], v0 offset0:127 offset1:176
	s_waitcnt lgkmcnt(0)
	v_mul_f64 v[84:85], v[88:89], v[2:3]
	v_mul_f64 v[2:3], v[86:87], v[2:3]
	s_delay_alu instid0(VALU_DEP_2) | instskip(NEXT) | instid1(VALU_DEP_2)
	v_fma_f64 v[84:85], v[6:7], v[86:87], -v[84:85]
	v_fma_f64 v[70:71], v[6:7], v[88:89], v[2:3]
	scratch_load_b32 v2, off, off offset:312 ; 4-byte Folded Reload
	s_waitcnt vmcnt(0)
	v_mul_i32_i24_e32 v106, 6, v2
	s_delay_alu instid0(VALU_DEP_1) | instskip(NEXT) | instid1(VALU_DEP_1)
	v_lshlrev_b64 v[2:3], 4, v[106:107]
	v_add_co_u32 v90, vcc_lo, s4, v2
	s_delay_alu instid0(VALU_DEP_2) | instskip(NEXT) | instid1(VALU_DEP_2)
	v_add_co_ci_u32_e32 v91, vcc_lo, s5, v3, vcc_lo
	v_add_co_u32 v2, vcc_lo, 0x1540, v90
	s_delay_alu instid0(VALU_DEP_2)
	v_add_co_ci_u32_e32 v3, vcc_lo, 0, v91, vcc_lo
	v_add_co_u32 v108, vcc_lo, 0x1000, v90
	v_add_co_ci_u32_e32 v109, vcc_lo, 0, v91, vcc_lo
	s_clause 0x1
	global_load_b128 v[86:89], v[2:3], off offset:16
	global_load_b128 v[116:119], v[108:109], off offset:1344
	v_add_co_u32 v110, vcc_lo, 0x1500, v90
	v_add_co_ci_u32_e32 v111, vcc_lo, 0, v91, vcc_lo
	s_waitcnt vmcnt(1)
	v_mul_f64 v[2:3], v[88:89], v[0:1]
	v_mul_f64 v[0:1], v[86:87], v[0:1]
	s_delay_alu instid0(VALU_DEP_2) | instskip(NEXT) | instid1(VALU_DEP_2)
	v_fma_f64 v[86:87], v[4:5], v[86:87], -v[2:3]
	v_fma_f64 v[88:89], v[4:5], v[88:89], v[0:1]
	ds_load_2addr_b64 v[0:3], v144 offset0:163 offset1:212
	s_waitcnt lgkmcnt(0)
	v_mul_f64 v[68:69], v[114:115], v[2:3]
	v_mul_f64 v[2:3], v[112:113], v[2:3]
	s_delay_alu instid0(VALU_DEP_2) | instskip(NEXT) | instid1(VALU_DEP_2)
	v_fma_f64 v[68:69], v[10:11], v[112:113], -v[68:69]
	v_fma_f64 v[66:67], v[10:11], v[114:115], v[2:3]
	s_clause 0x1
	global_load_b128 v[112:115], v[110:111], off offset:16
	global_load_b128 v[120:123], v[110:111], off offset:32
	s_waitcnt vmcnt(1)
	v_mul_f64 v[2:3], v[114:115], v[0:1]
	v_mul_f64 v[0:1], v[112:113], v[0:1]
	s_delay_alu instid0(VALU_DEP_2) | instskip(NEXT) | instid1(VALU_DEP_2)
	v_fma_f64 v[92:93], v[8:9], v[112:113], -v[2:3]
	v_fma_f64 v[90:91], v[8:9], v[114:115], v[0:1]
	ds_load_2addr_b64 v[0:3], v164 offset0:81 offset1:130
	s_clause 0x1
	global_load_b128 v[112:115], v[110:111], off offset:48
	global_load_b128 v[124:127], v[108:109], off offset:1280
	s_waitcnt lgkmcnt(0)
	v_mul_f64 v[64:65], v[96:97], v[2:3]
	v_mul_f64 v[2:3], v[94:95], v[2:3]
	s_delay_alu instid0(VALU_DEP_2) | instskip(NEXT) | instid1(VALU_DEP_2)
	v_fma_f64 v[64:65], v[22:23], v[94:95], -v[64:65]
	v_fma_f64 v[62:63], v[22:23], v[96:97], v[2:3]
	s_waitcnt vmcnt(1)
	v_mul_f64 v[2:3], v[114:115], v[0:1]
	v_mul_f64 v[0:1], v[112:113], v[0:1]
	s_delay_alu instid0(VALU_DEP_2) | instskip(NEXT) | instid1(VALU_DEP_2)
	v_fma_f64 v[96:97], v[20:21], v[112:113], -v[2:3]
	v_fma_f64 v[60:61], v[20:21], v[114:115], v[0:1]
	ds_load_2addr_b64 v[0:3], v140 offset0:27 offset1:76
	s_waitcnt vmcnt(0) lgkmcnt(0)
	v_mul_f64 v[94:95], v[126:127], v[2:3]
	v_mul_f64 v[2:3], v[124:125], v[2:3]
	s_delay_alu instid0(VALU_DEP_2) | instskip(NEXT) | instid1(VALU_DEP_2)
	v_fma_f64 v[94:95], v[58:59], v[124:125], -v[94:95]
	v_fma_f64 v[58:59], v[58:59], v[126:127], v[2:3]
	scratch_load_b32 v2, off, off offset:304 ; 4-byte Folded Reload
	s_waitcnt vmcnt(0)
	v_mul_i32_i24_e32 v106, 6, v2
	s_delay_alu instid0(VALU_DEP_1) | instskip(NEXT) | instid1(VALU_DEP_1)
	v_lshlrev_b64 v[2:3], 4, v[106:107]
	v_add_co_u32 v106, vcc_lo, s4, v2
	s_delay_alu instid0(VALU_DEP_2) | instskip(NEXT) | instid1(VALU_DEP_2)
	v_add_co_ci_u32_e32 v124, vcc_lo, s5, v3, vcc_lo
	v_add_co_u32 v108, vcc_lo, 0x1000, v106
	s_delay_alu instid0(VALU_DEP_2)
	v_add_co_ci_u32_e32 v109, vcc_lo, 0, v124, vcc_lo
	v_add_co_u32 v110, vcc_lo, 0x1500, v106
	v_add_co_ci_u32_e32 v111, vcc_lo, 0, v124, vcc_lo
	s_clause 0x1
	global_load_b128 v[112:115], v[108:109], off offset:1280
	global_load_b128 v[132:135], v[110:111], off offset:48
	s_waitcnt vmcnt(1)
	v_mul_f64 v[2:3], v[114:115], v[0:1]
	v_mul_f64 v[0:1], v[112:113], v[0:1]
	s_delay_alu instid0(VALU_DEP_2) | instskip(NEXT) | instid1(VALU_DEP_2)
	v_fma_f64 v[112:113], v[56:57], v[112:113], -v[2:3]
	v_fma_f64 v[114:115], v[56:57], v[114:115], v[0:1]
	ds_load_2addr_b64 v[0:3], v174 offset0:119 offset1:168
	s_waitcnt lgkmcnt(0)
	v_mul_f64 v[56:57], v[118:119], v[2:3]
	v_mul_f64 v[2:3], v[116:117], v[2:3]
	s_delay_alu instid0(VALU_DEP_2) | instskip(NEXT) | instid1(VALU_DEP_2)
	v_fma_f64 v[56:57], v[54:55], v[116:117], -v[56:57]
	v_fma_f64 v[54:55], v[54:55], v[118:119], v[2:3]
	v_add_co_u32 v2, vcc_lo, 0x1540, v106
	v_add_co_ci_u32_e32 v3, vcc_lo, 0, v124, vcc_lo
	s_clause 0x1
	global_load_b128 v[124:127], v[108:109], off offset:1344
	global_load_b128 v[128:131], v[2:3], off offset:16
	s_waitcnt vmcnt(1)
	v_mul_f64 v[2:3], v[126:127], v[0:1]
	v_mul_f64 v[0:1], v[124:125], v[0:1]
	s_delay_alu instid0(VALU_DEP_2) | instskip(NEXT) | instid1(VALU_DEP_2)
	v_fma_f64 v[118:119], v[52:53], v[124:125], -v[2:3]
	v_fma_f64 v[116:117], v[52:53], v[126:127], v[0:1]
	ds_load_2addr_b64 v[0:3], v157 offset0:201 offset1:250
	s_waitcnt lgkmcnt(0)
	v_mul_f64 v[52:53], v[122:123], v[2:3]
	v_mul_f64 v[2:3], v[120:121], v[2:3]
	s_delay_alu instid0(VALU_DEP_2) | instskip(NEXT) | instid1(VALU_DEP_2)
	v_fma_f64 v[52:53], v[50:51], v[120:121], -v[52:53]
	v_fma_f64 v[50:51], v[50:51], v[122:123], v[2:3]
	s_clause 0x1
	global_load_b128 v[122:125], v[110:111], off offset:32
	global_load_b128 v[136:139], v[110:111], off offset:16
	s_waitcnt vmcnt(1)
	v_mul_f64 v[2:3], v[124:125], v[0:1]
	v_mul_f64 v[0:1], v[122:123], v[0:1]
	s_delay_alu instid0(VALU_DEP_2) | instskip(NEXT) | instid1(VALU_DEP_2)
	v_fma_f64 v[122:123], v[48:49], v[122:123], -v[2:3]
	v_fma_f64 v[48:49], v[48:49], v[124:125], v[0:1]
	ds_load_2addr_b64 v[0:3], v155 offset0:157 offset1:206
	s_waitcnt lgkmcnt(0)
	v_mul_f64 v[108:109], v[130:131], v[2:3]
	v_mul_f64 v[2:3], v[128:129], v[2:3]
	s_delay_alu instid0(VALU_DEP_2) | instskip(NEXT) | instid1(VALU_DEP_2)
	v_fma_f64 v[120:121], v[46:47], v[128:129], -v[108:109]
	v_fma_f64 v[46:47], v[46:47], v[130:131], v[2:3]
	scratch_load_b32 v2, off, off offset:296 ; 4-byte Folded Reload
	s_waitcnt vmcnt(0)
	v_mul_i32_i24_e32 v106, 6, v2
	s_delay_alu instid0(VALU_DEP_1) | instskip(NEXT) | instid1(VALU_DEP_1)
	v_lshlrev_b64 v[2:3], 4, v[106:107]
	v_add_co_u32 v106, vcc_lo, s4, v2
	s_delay_alu instid0(VALU_DEP_2) | instskip(NEXT) | instid1(VALU_DEP_2)
	v_add_co_ci_u32_e32 v111, vcc_lo, s5, v3, vcc_lo
	v_add_co_u32 v2, vcc_lo, 0x1540, v106
	s_delay_alu instid0(VALU_DEP_2)
	v_add_co_ci_u32_e32 v3, vcc_lo, 0, v111, vcc_lo
	v_add_co_u32 v108, vcc_lo, 0x1000, v106
	v_add_co_ci_u32_e32 v109, vcc_lo, 0, v111, vcc_lo
	s_clause 0x1
	global_load_b128 v[124:127], v[2:3], off offset:16
	global_load_b128 v[140:143], v[108:109], off offset:1344
	v_add_co_u32 v110, vcc_lo, 0x1500, v106
	v_add_co_ci_u32_e32 v111, vcc_lo, 0, v111, vcc_lo
	s_waitcnt vmcnt(1)
	v_mul_f64 v[2:3], v[126:127], v[0:1]
	v_mul_f64 v[0:1], v[124:125], v[0:1]
	s_delay_alu instid0(VALU_DEP_2) | instskip(NEXT) | instid1(VALU_DEP_2)
	v_fma_f64 v[124:125], v[44:45], v[124:125], -v[2:3]
	v_fma_f64 v[126:127], v[44:45], v[126:127], v[0:1]
	ds_load_2addr_b64 v[0:3], v144 offset0:65 offset1:114
	s_waitcnt lgkmcnt(0)
	v_mul_f64 v[44:45], v[138:139], v[2:3]
	v_mul_f64 v[2:3], v[136:137], v[2:3]
	s_delay_alu instid0(VALU_DEP_2) | instskip(NEXT) | instid1(VALU_DEP_2)
	v_fma_f64 v[44:45], v[42:43], v[136:137], -v[44:45]
	v_fma_f64 v[42:43], v[42:43], v[138:139], v[2:3]
	s_clause 0x1
	global_load_b128 v[136:139], v[110:111], off offset:16
	global_load_b128 v[144:147], v[110:111], off offset:32
	s_waitcnt vmcnt(1)
	v_mul_f64 v[2:3], v[138:139], v[0:1]
	v_mul_f64 v[0:1], v[136:137], v[0:1]
	s_delay_alu instid0(VALU_DEP_2) | instskip(NEXT) | instid1(VALU_DEP_2)
	v_fma_f64 v[130:131], v[40:41], v[136:137], -v[2:3]
	v_fma_f64 v[128:129], v[40:41], v[138:139], v[0:1]
	v_add_nc_u32_e32 v0, 0x2c00, v254
	ds_load_2addr_b64 v[0:3], v0 offset0:111 offset1:160
	s_waitcnt lgkmcnt(0)
	v_mul_f64 v[40:41], v[134:135], v[2:3]
	v_mul_f64 v[2:3], v[132:133], v[2:3]
	s_delay_alu instid0(VALU_DEP_2) | instskip(NEXT) | instid1(VALU_DEP_2)
	v_fma_f64 v[40:41], v[38:39], v[132:133], -v[40:41]
	v_fma_f64 v[38:39], v[38:39], v[134:135], v[2:3]
	s_clause 0x1
	global_load_b128 v[134:137], v[110:111], off offset:48
	global_load_b128 v[170:173], v[108:109], off offset:1280
	s_waitcnt vmcnt(1)
	v_mul_f64 v[2:3], v[136:137], v[0:1]
	v_mul_f64 v[0:1], v[134:135], v[0:1]
	s_delay_alu instid0(VALU_DEP_2) | instskip(NEXT) | instid1(VALU_DEP_2)
	v_fma_f64 v[134:135], v[36:37], v[134:135], -v[2:3]
	v_fma_f64 v[36:37], v[36:37], v[136:137], v[0:1]
	ds_load_2addr_b64 v[0:3], v175 offset0:185 offset1:234
	s_waitcnt vmcnt(0) lgkmcnt(0)
	v_mul_f64 v[108:109], v[172:173], v[2:3]
	v_mul_f64 v[2:3], v[170:171], v[2:3]
	s_delay_alu instid0(VALU_DEP_2) | instskip(NEXT) | instid1(VALU_DEP_2)
	v_fma_f64 v[132:133], v[18:19], v[170:171], -v[108:109]
	v_fma_f64 v[34:35], v[18:19], v[172:173], v[2:3]
	scratch_load_b32 v2, off, off offset:288 ; 4-byte Folded Reload
	s_waitcnt vmcnt(0)
	v_mul_i32_i24_e32 v106, 6, v2
	s_delay_alu instid0(VALU_DEP_1) | instskip(NEXT) | instid1(VALU_DEP_1)
	v_lshlrev_b64 v[2:3], 4, v[106:107]
	v_add_co_u32 v106, vcc_lo, s4, v2
	s_delay_alu instid0(VALU_DEP_2) | instskip(NEXT) | instid1(VALU_DEP_2)
	v_add_co_ci_u32_e32 v154, vcc_lo, s5, v3, vcc_lo
	v_add_co_u32 v108, vcc_lo, 0x1000, v106
	s_delay_alu instid0(VALU_DEP_2)
	v_add_co_ci_u32_e32 v109, vcc_lo, 0, v154, vcc_lo
	v_add_co_u32 v110, vcc_lo, 0x1500, v106
	v_add_co_ci_u32_e32 v111, vcc_lo, 0, v154, vcc_lo
	s_clause 0x1
	global_load_b128 v[170:173], v[108:109], off offset:1280
	global_load_b128 v[184:187], v[110:111], off offset:48
	scratch_load_b128 v[4:7], off, off offset:344 ; 16-byte Folded Reload
	s_waitcnt vmcnt(2)
	v_mul_f64 v[2:3], v[172:173], v[0:1]
	v_mul_f64 v[0:1], v[170:171], v[0:1]
	s_delay_alu instid0(VALU_DEP_2) | instskip(NEXT) | instid1(VALU_DEP_2)
	v_fma_f64 v[138:139], v[16:17], v[170:171], -v[2:3]
	v_fma_f64 v[136:137], v[16:17], v[172:173], v[0:1]
	ds_load_2addr_b64 v[0:3], v174 offset0:21 offset1:70
	s_waitcnt lgkmcnt(0)
	v_mul_f64 v[32:33], v[142:143], v[2:3]
	v_mul_f64 v[2:3], v[140:141], v[2:3]
	s_waitcnt vmcnt(0)
	s_delay_alu instid0(VALU_DEP_2) | instskip(NEXT) | instid1(VALU_DEP_2)
	v_fma_f64 v[32:33], v[6:7], v[140:141], -v[32:33]
	v_fma_f64 v[30:31], v[6:7], v[142:143], v[2:3]
	v_add_co_u32 v2, vcc_lo, 0x1540, v106
	v_add_co_ci_u32_e32 v3, vcc_lo, 0, v154, vcc_lo
	s_clause 0x1
	global_load_b128 v[170:173], v[108:109], off offset:1344
	global_load_b128 v[177:180], v[2:3], off offset:16
	s_waitcnt vmcnt(1)
	v_mul_f64 v[2:3], v[172:173], v[0:1]
	v_mul_f64 v[0:1], v[170:171], v[0:1]
	s_delay_alu instid0(VALU_DEP_2) | instskip(NEXT) | instid1(VALU_DEP_2)
	v_fma_f64 v[142:143], v[4:5], v[170:171], -v[2:3]
	v_fma_f64 v[140:141], v[4:5], v[172:173], v[0:1]
	scratch_load_b128 v[4:7], off, off offset:328 ; 16-byte Folded Reload
	ds_load_2addr_b64 v[0:3], v157 offset0:103 offset1:152
	s_waitcnt lgkmcnt(0)
	v_mul_f64 v[28:29], v[146:147], v[2:3]
	v_mul_f64 v[2:3], v[144:145], v[2:3]
	s_waitcnt vmcnt(0)
	s_delay_alu instid0(VALU_DEP_2) | instskip(NEXT) | instid1(VALU_DEP_2)
	v_fma_f64 v[28:29], v[6:7], v[144:145], -v[28:29]
	v_fma_f64 v[26:27], v[6:7], v[146:147], v[2:3]
	s_clause 0x1
	global_load_b128 v[144:147], v[110:111], off offset:32
	global_load_b128 v[188:191], v[110:111], off offset:16
	s_waitcnt vmcnt(1)
	v_mul_f64 v[2:3], v[146:147], v[0:1]
	v_mul_f64 v[0:1], v[144:145], v[0:1]
	s_delay_alu instid0(VALU_DEP_2) | instskip(NEXT) | instid1(VALU_DEP_2)
	v_fma_f64 v[144:145], v[4:5], v[144:145], -v[2:3]
	v_fma_f64 v[24:25], v[4:5], v[146:147], v[0:1]
	scratch_load_b128 v[4:7], off, off offset:264 ; 16-byte Folded Reload
	ds_load_2addr_b64 v[0:3], v155 offset0:59 offset1:108
	s_waitcnt lgkmcnt(0)
	v_mul_f64 v[108:109], v[179:180], v[2:3]
	v_mul_f64 v[2:3], v[177:178], v[2:3]
	s_waitcnt vmcnt(0)
	s_delay_alu instid0(VALU_DEP_1) | instskip(SKIP_4) | instid1(VALU_DEP_1)
	v_fma_f64 v[22:23], v[6:7], v[179:180], v[2:3]
	scratch_load_b32 v2, off, off offset:560 ; 4-byte Folded Reload
	v_fma_f64 v[146:147], v[6:7], v[177:178], -v[108:109]
	s_waitcnt vmcnt(0)
	v_mul_i32_i24_e32 v106, 6, v2
	v_lshlrev_b64 v[2:3], 4, v[106:107]
	s_delay_alu instid0(VALU_DEP_1) | instskip(NEXT) | instid1(VALU_DEP_2)
	v_add_co_u32 v154, vcc_lo, s4, v2
	v_add_co_ci_u32_e32 v155, vcc_lo, s5, v3, vcc_lo
	s_delay_alu instid0(VALU_DEP_2) | instskip(NEXT) | instid1(VALU_DEP_2)
	v_add_co_u32 v2, vcc_lo, 0x1540, v154
	v_add_co_ci_u32_e32 v3, vcc_lo, 0, v155, vcc_lo
	v_add_co_u32 v108, vcc_lo, 0x1000, v154
	v_add_co_ci_u32_e32 v109, vcc_lo, 0, v155, vcc_lo
	s_clause 0x1
	global_load_b128 v[170:173], v[2:3], off offset:16
	global_load_b128 v[180:183], v[108:109], off offset:1344
	s_waitcnt vmcnt(1)
	v_mul_f64 v[2:3], v[172:173], v[0:1]
	v_mul_f64 v[0:1], v[170:171], v[0:1]
	s_delay_alu instid0(VALU_DEP_2) | instskip(NEXT) | instid1(VALU_DEP_2)
	v_fma_f64 v[106:107], v[4:5], v[170:171], -v[2:3]
	v_fma_f64 v[20:21], v[4:5], v[172:173], v[0:1]
	scratch_load_b128 v[4:7], off, off offset:216 ; 16-byte Folded Reload
	ds_load_2addr_b64 v[0:3], v175 offset0:87 offset1:136
	s_waitcnt lgkmcnt(0)
	v_mul_f64 v[110:111], v[102:103], v[0:1]
	v_mul_f64 v[0:1], v[100:101], v[0:1]
	s_waitcnt vmcnt(0)
	s_delay_alu instid0(VALU_DEP_2)
	v_fma_f64 v[170:171], v[4:5], v[100:101], -v[110:111]
	v_add_co_u32 v100, vcc_lo, 0x1500, v154
	v_add_co_ci_u32_e32 v101, vcc_lo, 0, v155, vcc_lo
	s_clause 0x1
	global_load_b128 v[172:175], v[108:109], off offset:1280
	global_load_b128 v[192:195], v[100:101], off offset:48
	v_fma_f64 v[102:103], v[4:5], v[102:103], v[0:1]
	s_waitcnt vmcnt(1)
	v_mul_f64 v[0:1], v[174:175], v[2:3]
	v_mul_f64 v[2:3], v[172:173], v[2:3]
	s_delay_alu instid0(VALU_DEP_2) | instskip(NEXT) | instid1(VALU_DEP_2)
	v_fma_f64 v[16:17], v[6:7], v[172:173], -v[0:1]
	v_fma_f64 v[18:19], v[6:7], v[174:175], v[2:3]
	scratch_load_b128 v[4:7], off, off offset:200 ; 16-byte Folded Reload
	ds_load_2addr_b64 v[0:3], v164 offset0:179 offset1:228
	v_add_f64 v[172:173], v[102:103], v[148:149]
	v_add_f64 v[148:149], v[102:103], -v[148:149]
	s_waitcnt lgkmcnt(0)
	v_mul_f64 v[108:109], v[162:163], v[0:1]
	v_mul_f64 v[0:1], v[160:161], v[0:1]
	s_waitcnt vmcnt(0)
	s_delay_alu instid0(VALU_DEP_1) | instskip(SKIP_3) | instid1(VALU_DEP_4)
	v_fma_f64 v[174:175], v[4:5], v[162:163], v[0:1]
	v_mul_f64 v[0:1], v[182:183], v[2:3]
	v_mul_f64 v[2:3], v[180:181], v[2:3]
	v_fma_f64 v[178:179], v[4:5], v[160:161], -v[108:109]
	v_add_f64 v[176:177], v[98:99], v[174:175]
	s_delay_alu instid0(VALU_DEP_4) | instskip(NEXT) | instid1(VALU_DEP_4)
	v_fma_f64 v[162:163], v[6:7], v[180:181], -v[0:1]
	v_fma_f64 v[14:15], v[6:7], v[182:183], v[2:3]
	scratch_load_b128 v[4:7], off, off offset:160 ; 16-byte Folded Reload
	v_add_nc_u32_e32 v0, 0x1400, v254
	v_add_f64 v[98:99], v[98:99], -v[174:175]
	ds_load_2addr_b64 v[0:3], v0 offset0:95 offset1:144
	s_waitcnt lgkmcnt(0)
	v_mul_f64 v[12:13], v[190:191], v[2:3]
	v_mul_f64 v[2:3], v[188:189], v[2:3]
	s_waitcnt vmcnt(0)
	s_delay_alu instid0(VALU_DEP_2) | instskip(NEXT) | instid1(VALU_DEP_2)
	v_fma_f64 v[12:13], v[6:7], v[188:189], -v[12:13]
	v_fma_f64 v[10:11], v[6:7], v[190:191], v[2:3]
	s_clause 0x1
	global_load_b128 v[180:183], v[100:101], off offset:16
	global_load_b128 v[188:191], v[100:101], off offset:32
	ds_load_b64 v[196:197], v254
	s_clause 0x1
	scratch_load_b128 v[108:111], off, off offset:128
	scratch_load_b32 v207, off, off offset:20
	s_waitcnt vmcnt(3)
	v_mul_f64 v[2:3], v[182:183], v[0:1]
	v_mul_f64 v[0:1], v[180:181], v[0:1]
	s_delay_alu instid0(VALU_DEP_2) | instskip(NEXT) | instid1(VALU_DEP_2)
	v_fma_f64 v[164:165], v[4:5], v[180:181], -v[2:3]
	v_fma_f64 v[8:9], v[4:5], v[182:183], v[0:1]
	scratch_load_b128 v[4:7], off, off offset:144 ; 16-byte Folded Reload
	ds_load_2addr_b64 v[0:3], v157 offset0:5 offset1:54
	s_waitcnt lgkmcnt(0)
	v_mul_f64 v[100:101], v[168:169], v[0:1]
	v_mul_f64 v[0:1], v[166:167], v[0:1]
	s_waitcnt vmcnt(0)
	s_delay_alu instid0(VALU_DEP_1) | instskip(SKIP_3) | instid1(VALU_DEP_3)
	v_fma_f64 v[180:181], v[4:5], v[168:169], v[0:1]
	v_mul_f64 v[0:1], v[190:191], v[2:3]
	v_mul_f64 v[2:3], v[188:189], v[2:3]
	v_fma_f64 v[182:183], v[4:5], v[166:167], -v[100:101]
	v_fma_f64 v[166:167], v[6:7], v[188:189], -v[0:1]
	s_delay_alu instid0(VALU_DEP_3)
	v_fma_f64 v[6:7], v[6:7], v[190:191], v[2:3]
	ds_load_2addr_b64 v[0:3], v156 offset0:141 offset1:190
	v_add_f64 v[188:189], v[150:151], v[180:181]
	v_add_f64 v[190:191], v[158:159], v[182:183]
	v_mad_u64_u32 v[156:157], null, s8, v207, 0
	s_waitcnt lgkmcnt(0)
	v_mul_f64 v[4:5], v[186:187], v[2:3]
	v_mul_f64 v[2:3], v[184:185], v[2:3]
	;; [unrolled: 1-line block ×4, first 2 shown]
	v_add_f64 v[102:103], v[188:189], -v[176:177]
	v_fma_f64 v[4:5], v[110:111], v[184:185], -v[4:5]
	v_fma_f64 v[2:3], v[110:111], v[186:187], v[2:3]
	v_fma_f64 v[168:169], v[108:109], v[192:193], -v[100:101]
	v_add_f64 v[100:101], v[172:173], v[176:177]
	v_add_f64 v[184:185], v[170:171], v[152:153]
	;; [unrolled: 1-line block ×3, first 2 shown]
	v_fma_f64 v[0:1], v[108:109], v[194:195], v[0:1]
	v_add_f64 v[152:153], v[170:171], -v[152:153]
	v_add_f64 v[192:193], v[188:189], v[100:101]
	s_delay_alu instid0(VALU_DEP_4) | instskip(NEXT) | instid1(VALU_DEP_1)
	v_add_f64 v[100:101], v[184:185], v[186:187]
	v_add_f64 v[194:195], v[190:191], v[100:101]
	scratch_load_b32 v100, off, off         ; 4-byte Folded Reload
	s_waitcnt vmcnt(0)
	ds_load_b64 v[198:199], v100
	scratch_load_b32 v100, off, off offset:16 ; 4-byte Folded Reload
	v_add_f64 v[110:111], v[196:197], v[192:193]
	s_waitcnt vmcnt(0)
	ds_load_b64 v[200:201], v100
	scratch_load_b32 v100, off, off offset:12 ; 4-byte Folded Reload
	s_waitcnt vmcnt(0)
	ds_load_b64 v[154:155], v100
	scratch_load_b64 v[100:101], off, off offset:120 ; 8-byte Folded Reload
	s_waitcnt vmcnt(0)
	v_add_f64 v[108:109], v[100:101], v[194:195]
	v_mov_b32_e32 v100, v157
	s_delay_alu instid0(VALU_DEP_1) | instskip(SKIP_2) | instid1(VALU_DEP_1)
	v_mad_u64_u32 v[160:161], null, s9, v207, v[100:101]
	scratch_load_b64 v[100:101], off, off offset:24 ; 8-byte Folded Reload
	v_mov_b32_e32 v157, v160
	v_lshlrev_b64 v[156:157], 4, v[156:157]
	s_waitcnt vmcnt(0)
	v_add_co_u32 v100, vcc_lo, s10, v100
	v_add_co_ci_u32_e32 v101, vcc_lo, s11, v101, vcc_lo
	s_delay_alu instid0(VALU_DEP_2) | instskip(NEXT) | instid1(VALU_DEP_2)
	v_add_co_u32 v156, vcc_lo, v100, v156
	v_add_co_ci_u32_e32 v157, vcc_lo, v101, v157, vcc_lo
	global_store_b128 v[156:157], v[108:111], off
	v_add_f64 v[156:157], v[158:159], -v[182:183]
	v_add_f64 v[158:159], v[104:105], -v[178:179]
	scratch_load_b32 v178, off, off offset:552 ; 4-byte Folded Reload
	v_fma_f64 v[110:111], v[192:193], s[16:17], v[110:111]
	v_mul_f64 v[192:193], v[102:103], s[22:23]
	v_fma_f64 v[108:109], v[194:195], s[16:17], v[108:109]
	v_add_f64 v[174:175], v[156:157], v[158:159]
	v_add_f64 v[170:171], v[156:157], -v[158:159]
	v_add_f64 v[156:157], v[152:153], -v[156:157]
	s_delay_alu instid0(VALU_DEP_3) | instskip(SKIP_3) | instid1(VALU_DEP_1)
	v_add_f64 v[174:175], v[152:153], v[174:175]
	v_add_f64 v[152:153], v[158:159], -v[152:153]
	scratch_load_b32 v158, off, off offset:548 ; 4-byte Folded Reload
	v_mul_f64 v[170:171], v[170:171], s[12:13]
	v_fma_f64 v[102:103], v[156:157], s[2:3], v[170:171]
	s_delay_alu instid0(VALU_DEP_1) | instskip(SKIP_2) | instid1(VALU_DEP_1)
	v_fma_f64 v[194:195], v[174:175], s[0:1], v[102:103]
	s_waitcnt vmcnt(1)
	v_mad_u64_u32 v[104:105], null, s8, v178, 0
	v_mad_u64_u32 v[160:161], null, s9, v178, v[105:106]
	v_add_f64 v[178:179], v[184:185], -v[190:191]
	s_delay_alu instid0(VALU_DEP_2) | instskip(NEXT) | instid1(VALU_DEP_1)
	v_mov_b32_e32 v105, v160
	v_lshlrev_b64 v[104:105], 4, v[104:105]
	s_delay_alu instid0(VALU_DEP_1) | instskip(NEXT) | instid1(VALU_DEP_2)
	v_add_co_u32 v160, vcc_lo, v100, v104
	v_add_co_ci_u32_e32 v161, vcc_lo, v101, v105, vcc_lo
	v_add_f64 v[104:105], v[150:151], -v[180:181]
	v_add_f64 v[150:151], v[172:173], -v[188:189]
	v_add_f64 v[180:181], v[190:191], -v[186:187]
	s_delay_alu instid0(VALU_DEP_3) | instskip(SKIP_2) | instid1(VALU_DEP_4)
	v_add_f64 v[188:189], v[104:105], -v[98:99]
	v_add_f64 v[182:183], v[104:105], v[98:99]
	v_add_f64 v[190:191], v[148:149], -v[104:105]
	v_mul_f64 v[180:181], v[180:181], s[22:23]
	v_add_f64 v[98:99], v[98:99], -v[148:149]
	v_mul_f64 v[188:189], v[188:189], s[12:13]
	v_add_f64 v[182:183], v[148:149], v[182:183]
	v_mul_f64 v[148:149], v[150:151], s[18:19]
	s_delay_alu instid0(VALU_DEP_3) | instskip(NEXT) | instid1(VALU_DEP_1)
	v_fma_f64 v[102:103], v[190:191], s[2:3], v[188:189]
	v_fma_f64 v[196:197], v[182:183], s[0:1], v[102:103]
	;; [unrolled: 1-line block ×3, first 2 shown]
	v_mul_f64 v[150:151], v[178:179], s[18:19]
	s_delay_alu instid0(VALU_DEP_2) | instskip(SKIP_1) | instid1(VALU_DEP_2)
	v_add_f64 v[202:203], v[102:103], v[110:111]
	v_fma_f64 v[102:103], v[178:179], s[18:19], v[180:181]
	v_add_f64 v[104:105], v[202:203], -v[194:195]
	s_delay_alu instid0(VALU_DEP_2) | instskip(NEXT) | instid1(VALU_DEP_1)
	v_add_f64 v[204:205], v[102:103], v[108:109]
	v_add_f64 v[102:103], v[196:197], v[204:205]
	global_store_b128 v[160:161], v[102:105], off
	s_waitcnt vmcnt(0)
	v_mad_u64_u32 v[102:103], null, s8, v158, 0
	v_add_f64 v[160:161], v[176:177], -v[172:173]
	v_add_f64 v[172:173], v[186:187], -v[184:185]
	s_delay_alu instid0(VALU_DEP_3) | instskip(NEXT) | instid1(VALU_DEP_1)
	v_mad_u64_u32 v[104:105], null, s9, v158, v[103:104]
	v_mov_b32_e32 v103, v104
	v_mul_f64 v[104:105], v[98:99], s[6:7]
	v_fma_f64 v[98:99], v[98:99], s[6:7], -v[188:189]
	s_delay_alu instid0(VALU_DEP_3) | instskip(NEXT) | instid1(VALU_DEP_1)
	v_lshlrev_b64 v[102:103], 4, v[102:103]
	v_add_co_u32 v158, vcc_lo, v100, v102
	s_delay_alu instid0(VALU_DEP_2)
	v_add_co_ci_u32_e32 v159, vcc_lo, v101, v103, vcc_lo
	v_mul_f64 v[102:103], v[152:153], s[6:7]
	v_fma_f64 v[148:149], v[160:161], s[24:25], -v[148:149]
	v_fma_f64 v[150:151], v[172:173], s[24:25], -v[150:151]
	;; [unrolled: 1-line block ×3, first 2 shown]
	v_fma_f64 v[98:99], v[182:183], s[0:1], v[98:99]
	v_fma_f64 v[102:103], v[156:157], s[14:15], -v[102:103]
	v_add_f64 v[148:149], v[148:149], v[110:111]
	v_add_f64 v[150:151], v[150:151], v[108:109]
	v_fma_f64 v[176:177], v[182:183], s[0:1], v[104:105]
	s_delay_alu instid0(VALU_DEP_4) | instskip(NEXT) | instid1(VALU_DEP_2)
	v_fma_f64 v[156:157], v[174:175], s[0:1], v[102:103]
	v_add_f64 v[102:103], v[176:177], v[150:151]
	s_delay_alu instid0(VALU_DEP_2)
	v_add_f64 v[104:105], v[148:149], -v[156:157]
	global_store_b128 v[158:159], v[102:105], off
	v_fma_f64 v[102:103], v[152:153], s[6:7], -v[170:171]
	v_fma_f64 v[152:153], v[172:173], s[20:21], -v[180:181]
	;; [unrolled: 1-line block ×3, first 2 shown]
	scratch_load_b32 v172, off, off offset:520 ; 4-byte Folded Reload
	v_fma_f64 v[158:159], v[174:175], s[0:1], v[102:103]
	v_add_f64 v[108:109], v[152:153], v[108:109]
	scratch_load_b32 v152, off, off offset:544 ; 4-byte Folded Reload
	v_add_f64 v[110:111], v[104:105], v[110:111]
	s_waitcnt vmcnt(1)
	v_mad_u64_u32 v[160:161], null, s8, v172, 0
	s_delay_alu instid0(VALU_DEP_1) | instskip(NEXT) | instid1(VALU_DEP_1)
	v_mad_u64_u32 v[170:171], null, s9, v172, v[161:162]
	v_mov_b32_e32 v161, v170
	s_delay_alu instid0(VALU_DEP_1) | instskip(SKIP_2) | instid1(VALU_DEP_1)
	v_lshlrev_b64 v[160:161], 4, v[160:161]
	s_waitcnt vmcnt(0)
	v_mad_u64_u32 v[102:103], null, s8, v152, 0
	v_mad_u64_u32 v[104:105], null, s9, v152, v[103:104]
	s_delay_alu instid0(VALU_DEP_1) | instskip(SKIP_1) | instid1(VALU_DEP_2)
	v_mov_b32_e32 v103, v104
	v_add_f64 v[104:105], v[158:159], v[110:111]
	v_lshlrev_b64 v[102:103], 4, v[102:103]
	s_delay_alu instid0(VALU_DEP_1) | instskip(NEXT) | instid1(VALU_DEP_2)
	v_add_co_u32 v152, vcc_lo, v100, v102
	v_add_co_ci_u32_e32 v153, vcc_lo, v101, v103, vcc_lo
	v_add_f64 v[102:103], v[108:109], -v[98:99]
	global_store_b128 v[152:153], v[102:105], off
	v_add_f64 v[104:105], v[110:111], -v[158:159]
	scratch_load_b32 v110, off, off offset:540 ; 4-byte Folded Reload
	v_add_f64 v[102:103], v[98:99], v[108:109]
	v_add_f64 v[152:153], v[164:165], v[162:163]
	s_waitcnt vmcnt(0)
	v_mad_u64_u32 v[98:99], null, s8, v110, 0
	s_delay_alu instid0(VALU_DEP_1) | instskip(SKIP_2) | instid1(VALU_DEP_1)
	v_mad_u64_u32 v[108:109], null, s9, v110, v[99:100]
	scratch_load_b32 v110, off, off offset:536 ; 4-byte Folded Reload
	v_mov_b32_e32 v99, v108
	v_lshlrev_b64 v[98:99], 4, v[98:99]
	s_delay_alu instid0(VALU_DEP_1) | instskip(NEXT) | instid1(VALU_DEP_2)
	v_add_co_u32 v98, vcc_lo, v100, v98
	v_add_co_ci_u32_e32 v99, vcc_lo, v101, v99, vcc_lo
	global_store_b128 v[98:99], v[102:105], off
	v_add_f64 v[104:105], v[156:157], v[148:149]
	v_add_f64 v[102:103], v[150:151], -v[176:177]
	v_add_f64 v[150:151], v[16:17], v[106:107]
	v_add_f64 v[156:157], v[168:169], v[166:167]
	v_add_f64 v[16:17], v[16:17], -v[106:107]
	s_waitcnt vmcnt(0)
	v_mad_u64_u32 v[98:99], null, s8, v110, 0
	s_delay_alu instid0(VALU_DEP_1) | instskip(SKIP_2) | instid1(VALU_DEP_1)
	v_mad_u64_u32 v[108:109], null, s9, v110, v[99:100]
	scratch_load_b32 v110, off, off offset:532 ; 4-byte Folded Reload
	v_mov_b32_e32 v99, v108
	v_lshlrev_b64 v[98:99], 4, v[98:99]
	s_delay_alu instid0(VALU_DEP_1) | instskip(NEXT) | instid1(VALU_DEP_2)
	v_add_co_u32 v98, vcc_lo, v100, v98
	v_add_co_ci_u32_e32 v99, vcc_lo, v101, v99, vcc_lo
	global_store_b128 v[98:99], v[102:105], off
	v_add_f64 v[104:105], v[194:195], v[202:203]
	v_add_f64 v[102:103], v[204:205], -v[196:197]
	s_waitcnt vmcnt(0)
	v_mad_u64_u32 v[98:99], null, s8, v110, 0
	s_delay_alu instid0(VALU_DEP_1) | instskip(SKIP_2) | instid1(VALU_DEP_3)
	v_mad_u64_u32 v[108:109], null, s9, v110, v[99:100]
	v_add_f64 v[110:111], v[0:1], v[6:7]
	v_add_f64 v[0:1], v[0:1], -v[6:7]
	v_mov_b32_e32 v99, v108
	v_add_f64 v[108:109], v[8:9], v[14:15]
	v_add_f64 v[14:15], v[8:9], -v[14:15]
	s_delay_alu instid0(VALU_DEP_3) | instskip(NEXT) | instid1(VALU_DEP_1)
	v_lshlrev_b64 v[98:99], 4, v[98:99]
	v_add_co_u32 v98, vcc_lo, v100, v98
	s_delay_alu instid0(VALU_DEP_2)
	v_add_co_ci_u32_e32 v99, vcc_lo, v101, v99, vcc_lo
	v_add_co_u32 v160, vcc_lo, v100, v160
	v_add_co_ci_u32_e32 v161, vcc_lo, v101, v161, vcc_lo
	global_store_b128 v[98:99], v[102:105], off
	v_add_f64 v[98:99], v[18:19], v[20:21]
	v_add_f64 v[18:19], v[18:19], -v[20:21]
	v_add_f64 v[6:7], v[110:111], -v[108:109]
	s_delay_alu instid0(VALU_DEP_3) | instskip(SKIP_2) | instid1(VALU_DEP_3)
	v_add_f64 v[102:103], v[98:99], v[108:109]
	v_add_f64 v[20:21], v[98:99], -v[110:111]
	v_add_f64 v[98:99], v[108:109], -v[98:99]
	v_add_f64 v[148:149], v[110:111], v[102:103]
	v_add_f64 v[102:103], v[150:151], v[152:153]
	s_waitcnt lgkmcnt(2)
	s_delay_alu instid0(VALU_DEP_2) | instskip(NEXT) | instid1(VALU_DEP_2)
	v_add_f64 v[104:105], v[198:199], v[148:149]
	v_add_f64 v[158:159], v[156:157], v[102:103]
	scratch_load_b64 v[102:103], off, off offset:112 ; 8-byte Folded Reload
	s_waitcnt vmcnt(0)
	v_add_f64 v[102:103], v[102:103], v[158:159]
	global_store_b128 v[160:161], v[102:105], off
	v_fma_f64 v[102:103], v[158:159], s[16:17], v[102:103]
	v_add_f64 v[158:159], v[164:165], -v[162:163]
	scratch_load_b32 v164, off, off offset:528 ; 4-byte Folded Reload
	v_fma_f64 v[104:105], v[148:149], s[16:17], v[104:105]
	v_add_f64 v[148:149], v[168:169], -v[166:167]
	v_mul_f64 v[166:167], v[6:7], s[22:23]
	s_delay_alu instid0(VALU_DEP_2)
	v_add_f64 v[106:107], v[148:149], v[158:159]
	v_add_f64 v[8:9], v[148:149], -v[158:159]
	v_add_f64 v[110:111], v[16:17], -v[148:149]
	;; [unrolled: 1-line block ×4, first 2 shown]
	v_add_f64 v[106:107], v[16:17], v[106:107]
	v_add_f64 v[16:17], v[158:159], -v[16:17]
	scratch_load_b32 v158, off, off offset:524 ; 4-byte Folded Reload
	v_mul_f64 v[156:157], v[156:157], s[22:23]
	s_waitcnt vmcnt(1)
	v_mad_u64_u32 v[160:161], null, s8, v164, 0
	s_delay_alu instid0(VALU_DEP_1) | instskip(SKIP_1) | instid1(VALU_DEP_2)
	v_mad_u64_u32 v[162:163], null, s9, v164, v[161:162]
	v_add_f64 v[164:165], v[0:1], -v[14:15]
	v_mov_b32_e32 v161, v162
	v_mul_f64 v[162:163], v[8:9], s[12:13]
	v_add_f64 v[8:9], v[0:1], v[14:15]
	v_add_f64 v[0:1], v[18:19], -v[0:1]
	v_add_f64 v[14:15], v[14:15], -v[18:19]
	v_lshlrev_b64 v[160:161], 4, v[160:161]
	s_delay_alu instid0(VALU_DEP_1) | instskip(NEXT) | instid1(VALU_DEP_2)
	v_add_co_u32 v160, vcc_lo, v100, v160
	v_add_co_ci_u32_e32 v161, vcc_lo, v101, v161, vcc_lo
	v_mul_f64 v[164:165], v[164:165], s[12:13]
	v_fma_f64 v[6:7], v[110:111], s[2:3], v[162:163]
	v_add_f64 v[168:169], v[18:19], v[8:9]
	v_add_f64 v[18:19], v[152:153], -v[150:151]
	s_delay_alu instid0(VALU_DEP_3) | instskip(SKIP_1) | instid1(VALU_DEP_1)
	v_fma_f64 v[170:171], v[106:107], s[0:1], v[6:7]
	v_fma_f64 v[6:7], v[0:1], s[2:3], v[164:165]
	;; [unrolled: 1-line block ×4, first 2 shown]
	s_delay_alu instid0(VALU_DEP_1) | instskip(SKIP_1) | instid1(VALU_DEP_2)
	v_add_f64 v[174:175], v[6:7], v[104:105]
	v_fma_f64 v[6:7], v[148:149], s[18:19], v[156:157]
	v_add_f64 v[8:9], v[174:175], -v[170:171]
	s_delay_alu instid0(VALU_DEP_2) | instskip(NEXT) | instid1(VALU_DEP_1)
	v_add_f64 v[176:177], v[6:7], v[102:103]
	v_add_f64 v[6:7], v[172:173], v[176:177]
	global_store_b128 v[160:161], v[6:9], off
	s_waitcnt vmcnt(0)
	v_mad_u64_u32 v[6:7], null, s8, v158, 0
	s_delay_alu instid0(VALU_DEP_1) | instskip(NEXT) | instid1(VALU_DEP_1)
	v_mad_u64_u32 v[8:9], null, s9, v158, v[7:8]
	v_mov_b32_e32 v7, v8
	v_mul_f64 v[8:9], v[14:15], s[6:7]
	s_delay_alu instid0(VALU_DEP_2) | instskip(NEXT) | instid1(VALU_DEP_1)
	v_lshlrev_b64 v[6:7], 4, v[6:7]
	v_add_co_u32 v158, vcc_lo, v100, v6
	s_delay_alu instid0(VALU_DEP_2) | instskip(SKIP_4) | instid1(VALU_DEP_4)
	v_add_co_ci_u32_e32 v159, vcc_lo, v101, v7, vcc_lo
	v_mul_f64 v[6:7], v[16:17], s[6:7]
	v_fma_f64 v[0:1], v[0:1], s[14:15], -v[8:9]
	v_mul_f64 v[8:9], v[20:21], s[18:19]
	v_mul_f64 v[20:21], v[148:149], s[18:19]
	v_fma_f64 v[6:7], v[110:111], s[14:15], -v[6:7]
	s_delay_alu instid0(VALU_DEP_4) | instskip(NEXT) | instid1(VALU_DEP_4)
	v_fma_f64 v[0:1], v[168:169], s[0:1], v[0:1]
	v_fma_f64 v[8:9], v[98:99], s[24:25], -v[8:9]
	s_delay_alu instid0(VALU_DEP_4) | instskip(NEXT) | instid1(VALU_DEP_4)
	v_fma_f64 v[20:21], v[18:19], s[24:25], -v[20:21]
	v_fma_f64 v[108:109], v[106:107], s[0:1], v[6:7]
	s_delay_alu instid0(VALU_DEP_3) | instskip(NEXT) | instid1(VALU_DEP_3)
	v_add_f64 v[110:111], v[8:9], v[104:105]
	v_add_f64 v[20:21], v[20:21], v[102:103]
	s_delay_alu instid0(VALU_DEP_2) | instskip(NEXT) | instid1(VALU_DEP_2)
	v_add_f64 v[8:9], v[110:111], -v[108:109]
	v_add_f64 v[6:7], v[0:1], v[20:21]
	global_store_b128 v[158:159], v[6:9], off
	v_fma_f64 v[6:7], v[16:17], s[6:7], -v[162:163]
	v_fma_f64 v[16:17], v[18:19], s[20:21], -v[156:157]
	;; [unrolled: 1-line block ×4, first 2 shown]
	s_delay_alu instid0(VALU_DEP_4) | instskip(NEXT) | instid1(VALU_DEP_4)
	v_fma_f64 v[18:19], v[106:107], s[0:1], v[6:7]
	v_add_f64 v[16:17], v[16:17], v[102:103]
	scratch_load_b32 v102, off, off offset:516 ; 4-byte Folded Reload
	v_fma_f64 v[98:99], v[168:169], s[0:1], v[8:9]
	v_add_f64 v[14:15], v[14:15], v[104:105]
	s_waitcnt vmcnt(0)
	v_mad_u64_u32 v[6:7], null, s8, v102, 0
	s_delay_alu instid0(VALU_DEP_1) | instskip(NEXT) | instid1(VALU_DEP_1)
	v_mad_u64_u32 v[8:9], null, s9, v102, v[7:8]
	v_mov_b32_e32 v7, v8
	s_delay_alu instid0(VALU_DEP_4) | instskip(NEXT) | instid1(VALU_DEP_2)
	v_add_f64 v[8:9], v[18:19], v[14:15]
	v_lshlrev_b64 v[6:7], 4, v[6:7]
	s_delay_alu instid0(VALU_DEP_1) | instskip(NEXT) | instid1(VALU_DEP_2)
	v_add_co_u32 v102, vcc_lo, v100, v6
	v_add_co_ci_u32_e32 v103, vcc_lo, v101, v7, vcc_lo
	v_add_f64 v[6:7], v[16:17], -v[98:99]
	global_store_b128 v[102:103], v[6:9], off
	v_add_f64 v[8:9], v[14:15], -v[18:19]
	scratch_load_b32 v18, off, off offset:512 ; 4-byte Folded Reload
	v_add_f64 v[6:7], v[98:99], v[16:17]
	v_add_f64 v[98:99], v[12:13], v[142:143]
	;; [unrolled: 1-line block ×3, first 2 shown]
	v_add_f64 v[12:13], v[12:13], -v[142:143]
	v_add_f64 v[4:5], v[4:5], -v[144:145]
	s_waitcnt vmcnt(0)
	v_mad_u64_u32 v[14:15], null, s8, v18, 0
	s_delay_alu instid0(VALU_DEP_1) | instskip(NEXT) | instid1(VALU_DEP_1)
	v_mad_u64_u32 v[16:17], null, s9, v18, v[15:16]
	v_mov_b32_e32 v15, v16
	scratch_load_b32 v16, off, off offset:508 ; 4-byte Folded Reload
	v_lshlrev_b64 v[14:15], 4, v[14:15]
	s_delay_alu instid0(VALU_DEP_1) | instskip(NEXT) | instid1(VALU_DEP_2)
	v_add_co_u32 v14, vcc_lo, v100, v14
	v_add_co_ci_u32_e32 v15, vcc_lo, v101, v15, vcc_lo
	global_store_b128 v[14:15], v[6:9], off
	v_add_f64 v[6:7], v[20:21], -v[0:1]
	v_add_f64 v[8:9], v[108:109], v[110:111]
	v_add_f64 v[20:21], v[138:139], v[146:147]
	scratch_load_b32 v110, off, off offset:492 ; 4-byte Folded Reload
	s_waitcnt vmcnt(1)
	v_mad_u64_u32 v[0:1], null, s8, v16, 0
	s_delay_alu instid0(VALU_DEP_1) | instskip(SKIP_2) | instid1(VALU_DEP_1)
	v_mad_u64_u32 v[14:15], null, s9, v16, v[1:2]
	scratch_load_b32 v16, off, off offset:504 ; 4-byte Folded Reload
	v_mov_b32_e32 v1, v14
	v_lshlrev_b64 v[0:1], 4, v[0:1]
	s_waitcnt vmcnt(1)
	v_mad_u64_u32 v[106:107], null, s8, v110, 0
	s_delay_alu instid0(VALU_DEP_2) | instskip(NEXT) | instid1(VALU_DEP_3)
	v_add_co_u32 v0, vcc_lo, v100, v0
	v_add_co_ci_u32_e32 v1, vcc_lo, v101, v1, vcc_lo
	s_delay_alu instid0(VALU_DEP_3)
	v_mad_u64_u32 v[108:109], null, s9, v110, v[107:108]
	global_store_b128 v[0:1], v[6:9], off
	v_add_f64 v[8:9], v[170:171], v[174:175]
	v_add_f64 v[6:7], v[176:177], -v[172:173]
	v_mov_b32_e32 v107, v108
	scratch_load_b32 v108, off, off offset:500 ; 4-byte Folded Reload
	v_lshlrev_b64 v[106:107], 4, v[106:107]
	s_waitcnt vmcnt(1)
	v_mad_u64_u32 v[0:1], null, s8, v16, 0
	s_delay_alu instid0(VALU_DEP_1) | instskip(SKIP_2) | instid1(VALU_DEP_3)
	v_mad_u64_u32 v[14:15], null, s9, v16, v[1:2]
	v_add_f64 v[16:17], v[10:11], v[140:141]
	v_add_f64 v[10:11], v[10:11], -v[140:141]
	v_mov_b32_e32 v1, v14
	v_add_f64 v[14:15], v[136:137], v[22:23]
	v_add_f64 v[22:23], v[136:137], -v[22:23]
	s_delay_alu instid0(VALU_DEP_3) | instskip(NEXT) | instid1(VALU_DEP_1)
	v_lshlrev_b64 v[0:1], 4, v[0:1]
	v_add_co_u32 v0, vcc_lo, v100, v0
	s_delay_alu instid0(VALU_DEP_2)
	v_add_co_ci_u32_e32 v1, vcc_lo, v101, v1, vcc_lo
	v_add_co_u32 v106, vcc_lo, v100, v106
	v_add_co_ci_u32_e32 v107, vcc_lo, v101, v107, vcc_lo
	global_store_b128 v[0:1], v[6:9], off
	v_add_f64 v[0:1], v[2:3], v[24:25]
	v_add_f64 v[2:3], v[2:3], -v[24:25]
	v_add_f64 v[6:7], v[14:15], v[16:17]
	s_delay_alu instid0(VALU_DEP_2) | instskip(SKIP_1) | instid1(VALU_DEP_3)
	v_add_f64 v[140:141], v[2:3], -v[10:11]
	v_add_f64 v[142:143], v[22:23], -v[2:3]
	v_add_f64 v[18:19], v[0:1], v[6:7]
	v_add_f64 v[6:7], v[20:21], v[98:99]
	s_delay_alu instid0(VALU_DEP_4) | instskip(SKIP_1) | instid1(VALU_DEP_3)
	v_mul_f64 v[140:141], v[140:141], s[12:13]
	s_waitcnt lgkmcnt(1)
	v_add_f64 v[8:9], v[200:201], v[18:19]
	s_delay_alu instid0(VALU_DEP_3)
	v_add_f64 v[104:105], v[102:103], v[6:7]
	scratch_load_b64 v[6:7], off, off offset:104 ; 8-byte Folded Reload
	s_waitcnt vmcnt(0)
	v_add_f64 v[6:7], v[6:7], v[104:105]
	global_store_b128 v[106:107], v[6:9], off
	v_fma_f64 v[6:7], v[104:105], s[16:17], v[6:7]
	v_fma_f64 v[8:9], v[18:19], s[16:17], v[8:9]
	v_add_f64 v[18:19], v[138:139], -v[146:147]
	v_add_f64 v[138:139], v[2:3], v[10:11]
	v_add_f64 v[10:11], v[10:11], -v[22:23]
	v_mad_u64_u32 v[104:105], null, s8, v108, 0
	s_delay_alu instid0(VALU_DEP_1) | instskip(SKIP_1) | instid1(VALU_DEP_2)
	v_mad_u64_u32 v[106:107], null, s9, v108, v[105:106]
	v_add_f64 v[108:109], v[4:5], -v[12:13]
	v_mov_b32_e32 v105, v106
	v_add_f64 v[106:107], v[14:15], -v[0:1]
	v_add_f64 v[14:15], v[16:17], -v[14:15]
	s_delay_alu instid0(VALU_DEP_3) | instskip(SKIP_3) | instid1(VALU_DEP_4)
	v_lshlrev_b64 v[24:25], 4, v[104:105]
	v_add_f64 v[104:105], v[0:1], -v[16:17]
	v_add_f64 v[0:1], v[4:5], v[12:13]
	v_add_f64 v[16:17], v[98:99], -v[20:21]
	v_add_co_u32 v24, vcc_lo, v100, v24
	v_add_co_ci_u32_e32 v25, vcc_lo, v101, v25, vcc_lo
	v_add_f64 v[4:5], v[18:19], -v[4:5]
	v_add_f64 v[12:13], v[12:13], -v[18:19]
	v_add_f64 v[138:139], v[22:23], v[138:139]
	v_mul_f64 v[108:109], v[108:109], s[12:13]
	v_mul_f64 v[104:105], v[104:105], s[22:23]
	v_add_f64 v[110:111], v[18:19], v[0:1]
	scratch_load_b32 v18, off, off offset:496 ; 4-byte Folded Reload
	v_add_f64 v[0:1], v[102:103], -v[98:99]
	v_add_f64 v[102:103], v[20:21], -v[102:103]
	v_fma_f64 v[136:137], v[106:107], s[18:19], v[104:105]
	s_delay_alu instid0(VALU_DEP_3) | instskip(SKIP_1) | instid1(VALU_DEP_4)
	v_mul_f64 v[144:145], v[0:1], s[22:23]
	v_fma_f64 v[0:1], v[4:5], s[2:3], v[108:109]
	v_mul_f64 v[20:21], v[102:103], s[18:19]
	s_delay_alu instid0(VALU_DEP_4) | instskip(NEXT) | instid1(VALU_DEP_3)
	v_add_f64 v[136:137], v[136:137], v[8:9]
	v_fma_f64 v[146:147], v[110:111], s[0:1], v[0:1]
	v_fma_f64 v[0:1], v[102:103], s[18:19], v[144:145]
	s_delay_alu instid0(VALU_DEP_4) | instskip(NEXT) | instid1(VALU_DEP_3)
	v_fma_f64 v[20:21], v[16:17], s[24:25], -v[20:21]
	v_add_f64 v[2:3], v[136:137], -v[146:147]
	s_delay_alu instid0(VALU_DEP_3) | instskip(SKIP_1) | instid1(VALU_DEP_4)
	v_add_f64 v[148:149], v[0:1], v[6:7]
	v_fma_f64 v[0:1], v[142:143], s[2:3], v[140:141]
	v_add_f64 v[20:21], v[20:21], v[6:7]
	s_delay_alu instid0(VALU_DEP_2) | instskip(NEXT) | instid1(VALU_DEP_1)
	v_fma_f64 v[150:151], v[138:139], s[0:1], v[0:1]
	v_add_f64 v[0:1], v[150:151], v[148:149]
	global_store_b128 v[24:25], v[0:3], off
	v_mul_f64 v[0:1], v[12:13], s[6:7]
	s_delay_alu instid0(VALU_DEP_1) | instskip(NEXT) | instid1(VALU_DEP_1)
	v_fma_f64 v[0:1], v[4:5], s[14:15], -v[0:1]
	v_fma_f64 v[24:25], v[110:111], s[0:1], v[0:1]
	s_waitcnt vmcnt(0)
	v_mad_u64_u32 v[2:3], null, s8, v18, 0
	s_delay_alu instid0(VALU_DEP_1) | instskip(NEXT) | instid1(VALU_DEP_1)
	v_mad_u64_u32 v[4:5], null, s9, v18, v[3:4]
	v_mov_b32_e32 v3, v4
	v_mul_f64 v[4:5], v[10:11], s[6:7]
	v_fma_f64 v[10:11], v[10:11], s[6:7], -v[140:141]
	s_delay_alu instid0(VALU_DEP_3) | instskip(NEXT) | instid1(VALU_DEP_1)
	v_lshlrev_b64 v[2:3], 4, v[2:3]
	v_add_co_u32 v18, vcc_lo, v100, v2
	s_delay_alu instid0(VALU_DEP_2) | instskip(SKIP_3) | instid1(VALU_DEP_3)
	v_add_co_ci_u32_e32 v19, vcc_lo, v101, v3, vcc_lo
	v_mul_f64 v[2:3], v[106:107], s[18:19]
	v_fma_f64 v[4:5], v[142:143], s[14:15], -v[4:5]
	v_fma_f64 v[10:11], v[138:139], s[0:1], v[10:11]
	v_fma_f64 v[2:3], v[14:15], s[24:25], -v[2:3]
	s_delay_alu instid0(VALU_DEP_3) | instskip(NEXT) | instid1(VALU_DEP_2)
	v_fma_f64 v[4:5], v[138:139], s[0:1], v[4:5]
	v_add_f64 v[22:23], v[2:3], v[8:9]
	s_delay_alu instid0(VALU_DEP_2) | instskip(NEXT) | instid1(VALU_DEP_2)
	v_add_f64 v[0:1], v[4:5], v[20:21]
	v_add_f64 v[2:3], v[22:23], -v[24:25]
	global_store_b128 v[18:19], v[0:3], off
	v_fma_f64 v[2:3], v[12:13], s[6:7], -v[108:109]
	v_fma_f64 v[12:13], v[16:17], s[20:21], -v[144:145]
	v_fma_f64 v[0:1], v[14:15], s[20:21], -v[104:105]
	v_add_f64 v[16:17], v[134:135], v[28:29]
	s_delay_alu instid0(VALU_DEP_4) | instskip(NEXT) | instid1(VALU_DEP_4)
	v_fma_f64 v[14:15], v[110:111], s[0:1], v[2:3]
	v_add_f64 v[6:7], v[12:13], v[6:7]
	scratch_load_b32 v12, off, off offset:488 ; 4-byte Folded Reload
	v_add_f64 v[8:9], v[0:1], v[8:9]
	s_waitcnt vmcnt(0)
	v_mad_u64_u32 v[0:1], null, s8, v12, 0
	s_delay_alu instid0(VALU_DEP_1) | instskip(NEXT) | instid1(VALU_DEP_1)
	v_mad_u64_u32 v[2:3], null, s9, v12, v[1:2]
	v_mov_b32_e32 v1, v2
	s_delay_alu instid0(VALU_DEP_4) | instskip(NEXT) | instid1(VALU_DEP_2)
	v_add_f64 v[2:3], v[14:15], v[8:9]
	v_lshlrev_b64 v[0:1], 4, v[0:1]
	s_delay_alu instid0(VALU_DEP_1) | instskip(NEXT) | instid1(VALU_DEP_2)
	v_add_co_u32 v12, vcc_lo, v100, v0
	v_add_co_ci_u32_e32 v13, vcc_lo, v101, v1, vcc_lo
	v_add_f64 v[0:1], v[6:7], -v[10:11]
	global_store_b128 v[12:13], v[0:3], off
	v_add_f64 v[0:1], v[10:11], v[6:7]
	scratch_load_b32 v10, off, off offset:484 ; 4-byte Folded Reload
	v_add_f64 v[2:3], v[8:9], -v[14:15]
	v_add_f64 v[12:13], v[132:133], v[124:125]
	v_add_f64 v[14:15], v[130:131], v[32:33]
	s_waitcnt vmcnt(0)
	v_mad_u64_u32 v[6:7], null, s8, v10, 0
	s_delay_alu instid0(VALU_DEP_1) | instskip(NEXT) | instid1(VALU_DEP_1)
	v_mad_u64_u32 v[8:9], null, s9, v10, v[7:8]
	v_mov_b32_e32 v7, v8
	scratch_load_b32 v8, off, off offset:480 ; 4-byte Folded Reload
	v_lshlrev_b64 v[6:7], 4, v[6:7]
	s_delay_alu instid0(VALU_DEP_1) | instskip(NEXT) | instid1(VALU_DEP_2)
	v_add_co_u32 v6, vcc_lo, v100, v6
	v_add_co_ci_u32_e32 v7, vcc_lo, v101, v7, vcc_lo
	global_store_b128 v[6:7], v[0:3], off
	v_add_f64 v[0:1], v[20:21], -v[4:5]
	v_add_f64 v[2:3], v[24:25], v[22:23]
	scratch_load_b32 v24, off, off offset:464 ; 4-byte Folded Reload
	s_waitcnt vmcnt(1)
	v_mad_u64_u32 v[4:5], null, s8, v8, 0
	s_delay_alu instid0(VALU_DEP_1) | instskip(SKIP_4) | instid1(VALU_DEP_2)
	v_mad_u64_u32 v[6:7], null, s9, v8, v[5:6]
	scratch_load_b32 v8, off, off offset:476 ; 4-byte Folded Reload
	v_mov_b32_e32 v5, v6
	s_waitcnt vmcnt(1)
	v_mad_u64_u32 v[20:21], null, s8, v24, 0
	v_lshlrev_b64 v[4:5], 4, v[4:5]
	s_delay_alu instid0(VALU_DEP_1) | instskip(NEXT) | instid1(VALU_DEP_2)
	v_add_co_u32 v4, vcc_lo, v100, v4
	v_add_co_ci_u32_e32 v5, vcc_lo, v101, v5, vcc_lo
	s_delay_alu instid0(VALU_DEP_4)
	v_mad_u64_u32 v[22:23], null, s9, v24, v[21:22]
	scratch_load_b32 v24, off, off offset:472 ; 4-byte Folded Reload
	global_store_b128 v[4:5], v[0:3], off
	v_add_f64 v[2:3], v[146:147], v[136:137]
	v_add_f64 v[0:1], v[148:149], -v[150:151]
	v_mov_b32_e32 v21, v22
	s_delay_alu instid0(VALU_DEP_1) | instskip(SKIP_2) | instid1(VALU_DEP_1)
	v_lshlrev_b64 v[20:21], 4, v[20:21]
	s_waitcnt vmcnt(1)
	v_mad_u64_u32 v[4:5], null, s8, v8, 0
	v_mad_u64_u32 v[6:7], null, s9, v8, v[5:6]
	v_add_f64 v[8:9], v[36:37], v[26:27]
	v_add_f64 v[26:27], v[36:37], -v[26:27]
	v_add_f64 v[36:37], v[12:13], -v[16:17]
	s_delay_alu instid0(VALU_DEP_4) | instskip(SKIP_1) | instid1(VALU_DEP_2)
	v_mov_b32_e32 v5, v6
	v_add_f64 v[6:7], v[128:129], v[30:31]
	v_lshlrev_b64 v[4:5], 4, v[4:5]
	s_delay_alu instid0(VALU_DEP_1) | instskip(NEXT) | instid1(VALU_DEP_2)
	v_add_co_u32 v4, vcc_lo, v100, v4
	v_add_co_ci_u32_e32 v5, vcc_lo, v101, v5, vcc_lo
	v_add_co_u32 v20, vcc_lo, v100, v20
	v_add_co_ci_u32_e32 v21, vcc_lo, v101, v21, vcc_lo
	global_store_b128 v[4:5], v[0:3], off
	v_add_f64 v[4:5], v[34:35], v[126:127]
	s_delay_alu instid0(VALU_DEP_1) | instskip(NEXT) | instid1(VALU_DEP_1)
	v_add_f64 v[0:1], v[4:5], v[6:7]
	v_add_f64 v[10:11], v[8:9], v[0:1]
	;; [unrolled: 1-line block ×3, first 2 shown]
	s_waitcnt lgkmcnt(0)
	s_delay_alu instid0(VALU_DEP_2) | instskip(NEXT) | instid1(VALU_DEP_2)
	v_add_f64 v[2:3], v[154:155], v[10:11]
	v_add_f64 v[18:19], v[16:17], v[0:1]
	scratch_load_b64 v[0:1], off, off offset:96 ; 8-byte Folded Reload
	v_add_f64 v[16:17], v[16:17], -v[14:15]
	v_fma_f64 v[10:11], v[10:11], s[16:17], v[2:3]
	s_delay_alu instid0(VALU_DEP_2)
	v_mul_f64 v[16:17], v[16:17], s[22:23]
	s_waitcnt vmcnt(0)
	v_add_f64 v[0:1], v[0:1], v[18:19]
	global_store_b128 v[20:21], v[0:3], off
	v_fma_f64 v[18:19], v[18:19], s[16:17], v[0:1]
	v_add_f64 v[0:1], v[134:135], -v[28:29]
	v_add_f64 v[20:21], v[130:131], -v[32:33]
	;; [unrolled: 1-line block ×3, first 2 shown]
	v_mad_u64_u32 v[2:3], null, s8, v24, 0
	s_delay_alu instid0(VALU_DEP_1) | instskip(SKIP_1) | instid1(VALU_DEP_2)
	v_mad_u64_u32 v[22:23], null, s9, v24, v[3:4]
	v_add_f64 v[24:25], v[34:35], -v[126:127]
	v_mov_b32_e32 v3, v22
	v_add_f64 v[22:23], v[132:133], -v[124:125]
	s_delay_alu instid0(VALU_DEP_2) | instskip(NEXT) | instid1(VALU_DEP_1)
	v_lshlrev_b64 v[2:3], 4, v[2:3]
	v_add_co_u32 v30, vcc_lo, v100, v2
	s_delay_alu instid0(VALU_DEP_2)
	v_add_co_ci_u32_e32 v31, vcc_lo, v101, v3, vcc_lo
	v_add_f64 v[2:3], v[0:1], v[20:21]
	v_add_f64 v[102:103], v[26:27], v[28:29]
	v_add_f64 v[32:33], v[22:23], -v[0:1]
	v_add_f64 v[0:1], v[0:1], -v[20:21]
	;; [unrolled: 1-line block ×3, first 2 shown]
	v_add_f64 v[34:35], v[22:23], v[2:3]
	scratch_load_b32 v22, off, off offset:468 ; 4-byte Folded Reload
	v_add_f64 v[2:3], v[8:9], -v[6:7]
	v_add_f64 v[8:9], v[4:5], -v[8:9]
	v_add_f64 v[102:103], v[24:25], v[102:103]
	v_add_f64 v[4:5], v[6:7], -v[4:5]
	v_add_f64 v[6:7], v[14:15], -v[12:13]
	;; [unrolled: 1-line block ×3, first 2 shown]
	v_mul_f64 v[104:105], v[0:1], s[12:13]
	v_mul_f64 v[98:99], v[2:3], s[22:23]
	v_add_f64 v[2:3], v[26:27], -v[28:29]
	v_add_f64 v[26:27], v[24:25], -v[26:27]
	;; [unrolled: 1-line block ×3, first 2 shown]
	s_delay_alu instid0(VALU_DEP_4) | instskip(NEXT) | instid1(VALU_DEP_4)
	v_fma_f64 v[0:1], v[8:9], s[18:19], v[98:99]
	v_mul_f64 v[106:107], v[2:3], s[12:13]
	s_delay_alu instid0(VALU_DEP_2) | instskip(SKIP_1) | instid1(VALU_DEP_1)
	v_add_f64 v[108:109], v[0:1], v[10:11]
	v_fma_f64 v[0:1], v[32:33], s[2:3], v[104:105]
	v_fma_f64 v[110:111], v[34:35], s[0:1], v[0:1]
	v_fma_f64 v[0:1], v[36:37], s[18:19], v[16:17]
	s_delay_alu instid0(VALU_DEP_2) | instskip(NEXT) | instid1(VALU_DEP_2)
	v_add_f64 v[2:3], v[108:109], -v[110:111]
	v_add_f64 v[124:125], v[0:1], v[18:19]
	v_fma_f64 v[0:1], v[26:27], s[2:3], v[106:107]
	s_delay_alu instid0(VALU_DEP_1) | instskip(NEXT) | instid1(VALU_DEP_1)
	v_fma_f64 v[126:127], v[102:103], s[0:1], v[0:1]
	v_add_f64 v[0:1], v[126:127], v[124:125]
	global_store_b128 v[30:31], v[0:3], off
	v_mul_f64 v[0:1], v[20:21], s[6:7]
	v_add_f64 v[30:31], v[42:43], -v[116:117]
	s_waitcnt vmcnt(0)
	v_mad_u64_u32 v[2:3], null, s8, v22, 0
	s_delay_alu instid0(VALU_DEP_1) | instskip(NEXT) | instid1(VALU_DEP_1)
	v_mad_u64_u32 v[14:15], null, s9, v22, v[3:4]
	v_mov_b32_e32 v3, v14
	v_mul_f64 v[14:15], v[12:13], s[6:7]
	s_delay_alu instid0(VALU_DEP_2) | instskip(SKIP_1) | instid1(VALU_DEP_2)
	v_lshlrev_b64 v[2:3], 4, v[2:3]
	v_fma_f64 v[0:1], v[32:33], s[14:15], -v[0:1]
	v_add_co_u32 v22, vcc_lo, v100, v2
	s_delay_alu instid0(VALU_DEP_3) | instskip(SKIP_4) | instid1(VALU_DEP_4)
	v_add_co_ci_u32_e32 v23, vcc_lo, v101, v3, vcc_lo
	v_mul_f64 v[2:3], v[8:9], s[18:19]
	v_mul_f64 v[8:9], v[36:37], s[18:19]
	v_fma_f64 v[14:15], v[26:27], s[14:15], -v[14:15]
	v_fma_f64 v[26:27], v[34:35], s[0:1], v[0:1]
	v_fma_f64 v[2:3], v[4:5], s[24:25], -v[2:3]
	s_delay_alu instid0(VALU_DEP_4) | instskip(NEXT) | instid1(VALU_DEP_4)
	v_fma_f64 v[8:9], v[6:7], s[24:25], -v[8:9]
	v_fma_f64 v[14:15], v[102:103], s[0:1], v[14:15]
	s_delay_alu instid0(VALU_DEP_3) | instskip(NEXT) | instid1(VALU_DEP_3)
	v_add_f64 v[24:25], v[2:3], v[10:11]
	v_add_f64 v[8:9], v[8:9], v[18:19]
	s_delay_alu instid0(VALU_DEP_2) | instskip(NEXT) | instid1(VALU_DEP_2)
	v_add_f64 v[2:3], v[24:25], -v[26:27]
	v_add_f64 v[0:1], v[14:15], v[8:9]
	global_store_b128 v[22:23], v[0:3], off
	v_fma_f64 v[0:1], v[4:5], s[20:21], -v[98:99]
	v_fma_f64 v[4:5], v[6:7], s[20:21], -v[16:17]
	scratch_load_b32 v16, off, off offset:460 ; 4-byte Folded Reload
	v_fma_f64 v[2:3], v[20:21], s[6:7], -v[104:105]
	v_fma_f64 v[6:7], v[12:13], s[6:7], -v[106:107]
	scratch_load_b32 v23, off, off offset:456 ; 4-byte Folded Reload
	v_add_f64 v[10:11], v[0:1], v[10:11]
	v_add_f64 v[4:5], v[4:5], v[18:19]
	v_fma_f64 v[12:13], v[34:35], s[0:1], v[2:3]
	v_fma_f64 v[6:7], v[102:103], s[0:1], v[6:7]
	s_waitcnt vmcnt(1)
	v_mad_u64_u32 v[0:1], null, s8, v16, 0
	s_waitcnt vmcnt(0)
	v_mul_hi_u32 v22, 0xbf112a8b, v23
	s_delay_alu instid0(VALU_DEP_2) | instskip(NEXT) | instid1(VALU_DEP_2)
	v_mad_u64_u32 v[2:3], null, s9, v16, v[1:2]
	v_lshrrev_b32_e32 v22, 8, v22
	s_delay_alu instid0(VALU_DEP_2) | instskip(SKIP_1) | instid1(VALU_DEP_3)
	v_mov_b32_e32 v1, v2
	v_add_f64 v[2:3], v[12:13], v[10:11]
	v_mad_u32_u24 v106, 0x80a, v22, v23
	s_delay_alu instid0(VALU_DEP_3) | instskip(NEXT) | instid1(VALU_DEP_2)
	v_lshlrev_b64 v[0:1], 4, v[0:1]
	v_mad_u64_u32 v[22:23], null, s8, v106, 0
	s_delay_alu instid0(VALU_DEP_2) | instskip(NEXT) | instid1(VALU_DEP_3)
	v_add_co_u32 v16, vcc_lo, v100, v0
	v_add_co_ci_u32_e32 v17, vcc_lo, v101, v1, vcc_lo
	v_add_f64 v[0:1], v[4:5], -v[6:7]
	global_store_b128 v[16:17], v[0:3], off
	v_add_f64 v[2:3], v[10:11], -v[12:13]
	v_add_nc_u32_e32 v10, 0x5ef, v207
	v_add_f64 v[0:1], v[6:7], v[4:5]
	v_add_f64 v[12:13], v[112:113], v[120:121]
	v_add_f64 v[16:17], v[40:41], v[122:123]
	s_delay_alu instid0(VALU_DEP_4) | instskip(NEXT) | instid1(VALU_DEP_1)
	v_mad_u64_u32 v[4:5], null, s8, v10, 0
	v_mad_u64_u32 v[6:7], null, s9, v10, v[5:6]
	s_delay_alu instid0(VALU_DEP_1) | instskip(NEXT) | instid1(VALU_DEP_1)
	v_mov_b32_e32 v5, v6
	v_lshlrev_b64 v[4:5], 4, v[4:5]
	s_delay_alu instid0(VALU_DEP_1) | instskip(NEXT) | instid1(VALU_DEP_2)
	v_add_co_u32 v4, vcc_lo, v100, v4
	v_add_co_ci_u32_e32 v5, vcc_lo, v101, v5, vcc_lo
	global_store_b128 v[4:5], v[0:3], off
	v_add_f64 v[0:1], v[8:9], -v[14:15]
	v_add_nc_u32_e32 v8, 0x746, v207
	v_add_f64 v[2:3], v[26:27], v[24:25]
	v_add_f64 v[14:15], v[44:45], v[118:119]
	v_add_nc_u32_e32 v26, 0x157, v106
	v_mad_u64_u32 v[24:25], null, s9, v106, v[23:24]
	v_mad_u64_u32 v[4:5], null, s8, v8, 0
	s_delay_alu instid0(VALU_DEP_2) | instskip(NEXT) | instid1(VALU_DEP_2)
	v_mov_b32_e32 v23, v24
	v_mad_u64_u32 v[6:7], null, s9, v8, v[5:6]
	v_add_nc_u32_e32 v8, 0x89d, v207
	s_delay_alu instid0(VALU_DEP_3) | instskip(NEXT) | instid1(VALU_DEP_3)
	v_lshlrev_b64 v[22:23], 4, v[22:23]
	v_mov_b32_e32 v5, v6
	s_delay_alu instid0(VALU_DEP_1) | instskip(NEXT) | instid1(VALU_DEP_1)
	v_lshlrev_b64 v[4:5], 4, v[4:5]
	v_add_co_u32 v4, vcc_lo, v100, v4
	s_delay_alu instid0(VALU_DEP_2) | instskip(SKIP_4) | instid1(VALU_DEP_1)
	v_add_co_ci_u32_e32 v5, vcc_lo, v101, v5, vcc_lo
	global_store_b128 v[4:5], v[0:3], off
	v_add_f64 v[2:3], v[110:111], v[108:109]
	v_add_f64 v[0:1], v[124:125], -v[126:127]
	v_mad_u64_u32 v[4:5], null, s8, v8, 0
	v_mad_u64_u32 v[6:7], null, s9, v8, v[5:6]
	v_add_f64 v[8:9], v[38:39], v[48:49]
	s_delay_alu instid0(VALU_DEP_2) | instskip(SKIP_2) | instid1(VALU_DEP_3)
	v_mov_b32_e32 v5, v6
	v_add_f64 v[6:7], v[42:43], v[116:117]
	v_add_f64 v[42:43], v[28:29], -v[30:31]
	v_lshlrev_b64 v[4:5], 4, v[4:5]
	s_delay_alu instid0(VALU_DEP_1) | instskip(NEXT) | instid1(VALU_DEP_2)
	v_add_co_u32 v4, vcc_lo, v100, v4
	v_add_co_ci_u32_e32 v5, vcc_lo, v101, v5, vcc_lo
	v_add_co_u32 v22, vcc_lo, v100, v22
	v_add_co_ci_u32_e32 v23, vcc_lo, v101, v23, vcc_lo
	global_store_b128 v[4:5], v[0:3], off
	v_add_f64 v[4:5], v[114:115], v[46:47]
	scratch_load_b32 v2, off, off offset:4  ; 4-byte Folded Reload
	v_mul_f64 v[42:43], v[42:43], s[12:13]
	v_add_f64 v[0:1], v[4:5], v[6:7]
	s_delay_alu instid0(VALU_DEP_1) | instskip(SKIP_1) | instid1(VALU_DEP_1)
	v_add_f64 v[10:11], v[8:9], v[0:1]
	v_add_f64 v[0:1], v[12:13], v[14:15]
	;; [unrolled: 1-line block ×3, first 2 shown]
	scratch_load_b32 v0, off, off offset:8  ; 4-byte Folded Reload
	s_waitcnt vmcnt(1)
	ds_load_b64 v[20:21], v2
	s_waitcnt vmcnt(0)
	ds_load_b64 v[0:1], v0
	s_waitcnt lgkmcnt(0)
	v_add_f64 v[2:3], v[0:1], v[10:11]
	scratch_load_b64 v[0:1], off, off offset:88 ; 8-byte Folded Reload
	v_fma_f64 v[10:11], v[10:11], s[16:17], v[2:3]
	s_waitcnt vmcnt(0)
	v_add_f64 v[0:1], v[0:1], v[18:19]
	global_store_b128 v[22:23], v[0:3], off
	v_fma_f64 v[18:19], v[18:19], s[16:17], v[0:1]
	v_add_f64 v[0:1], v[40:41], -v[122:123]
	v_add_f64 v[22:23], v[44:45], -v[118:119]
	v_mad_u64_u32 v[2:3], null, s8, v26, 0
	v_add_f64 v[40:41], v[4:5], -v[8:9]
	s_delay_alu instid0(VALU_DEP_2) | instskip(SKIP_2) | instid1(VALU_DEP_3)
	v_mad_u64_u32 v[24:25], null, s9, v26, v[3:4]
	v_add_f64 v[26:27], v[114:115], -v[46:47]
	v_add_f64 v[4:5], v[6:7], -v[4:5]
	v_mov_b32_e32 v3, v24
	v_add_f64 v[24:25], v[112:113], -v[120:121]
	s_delay_alu instid0(VALU_DEP_2) | instskip(NEXT) | instid1(VALU_DEP_1)
	v_lshlrev_b64 v[2:3], 4, v[2:3]
	v_add_co_u32 v32, vcc_lo, v100, v2
	s_delay_alu instid0(VALU_DEP_2)
	v_add_co_ci_u32_e32 v33, vcc_lo, v101, v3, vcc_lo
	v_add_f64 v[2:3], v[0:1], v[22:23]
	v_add_f64 v[34:35], v[0:1], -v[22:23]
	v_add_f64 v[36:37], v[24:25], -v[0:1]
	;; [unrolled: 1-line block ×7, first 2 shown]
	v_add_f64 v[38:39], v[24:25], v[2:3]
	v_add_f64 v[2:3], v[16:17], -v[14:15]
	v_mul_f64 v[16:17], v[34:35], s[12:13]
	v_add_f64 v[34:35], v[28:29], v[30:31]
	v_add_f64 v[28:29], v[26:27], -v[28:29]
	v_add_nc_u32_e32 v24, 0x2ae, v106
	v_mul_f64 v[44:45], v[0:1], s[22:23]
	v_mul_f64 v[46:47], v[2:3], s[22:23]
	v_fma_f64 v[0:1], v[36:37], s[2:3], v[16:17]
	v_add_f64 v[34:35], v[26:27], v[34:35]
	s_delay_alu instid0(VALU_DEP_2) | instskip(SKIP_1) | instid1(VALU_DEP_1)
	v_fma_f64 v[48:49], v[38:39], s[0:1], v[0:1]
	v_fma_f64 v[0:1], v[28:29], s[2:3], v[42:43]
	;; [unrolled: 1-line block ×4, first 2 shown]
	s_delay_alu instid0(VALU_DEP_1) | instskip(SKIP_2) | instid1(VALU_DEP_3)
	v_add_f64 v[102:103], v[0:1], v[10:11]
	v_fma_f64 v[0:1], v[8:9], s[18:19], v[46:47]
	v_mul_f64 v[8:9], v[8:9], s[18:19]
	v_add_f64 v[2:3], v[102:103], -v[48:49]
	s_delay_alu instid0(VALU_DEP_3) | instskip(NEXT) | instid1(VALU_DEP_3)
	v_add_f64 v[104:105], v[0:1], v[18:19]
	v_fma_f64 v[8:9], v[6:7], s[24:25], -v[8:9]
	v_fma_f64 v[6:7], v[6:7], s[20:21], -v[46:47]
	s_delay_alu instid0(VALU_DEP_3) | instskip(NEXT) | instid1(VALU_DEP_3)
	v_add_f64 v[0:1], v[98:99], v[104:105]
	v_add_f64 v[8:9], v[8:9], v[18:19]
	s_delay_alu instid0(VALU_DEP_3) | instskip(SKIP_3) | instid1(VALU_DEP_2)
	v_add_f64 v[6:7], v[6:7], v[18:19]
	global_store_b128 v[32:33], v[0:3], off
	v_mad_u64_u32 v[2:3], null, s8, v24, 0
	v_mul_f64 v[0:1], v[22:23], s[6:7]
	v_mad_u64_u32 v[14:15], null, s9, v24, v[3:4]
	s_delay_alu instid0(VALU_DEP_1) | instskip(SKIP_1) | instid1(VALU_DEP_2)
	v_mov_b32_e32 v3, v14
	v_mul_f64 v[14:15], v[12:13], s[6:7]
	v_lshlrev_b64 v[2:3], 4, v[2:3]
	s_delay_alu instid0(VALU_DEP_1) | instskip(NEXT) | instid1(VALU_DEP_2)
	v_add_co_u32 v24, vcc_lo, v100, v2
	v_add_co_ci_u32_e32 v25, vcc_lo, v101, v3, vcc_lo
	v_mul_f64 v[2:3], v[40:41], s[18:19]
	v_fma_f64 v[0:1], v[36:37], s[14:15], -v[0:1]
	v_fma_f64 v[14:15], v[28:29], s[14:15], -v[14:15]
	s_delay_alu instid0(VALU_DEP_3) | instskip(SKIP_1) | instid1(VALU_DEP_4)
	v_fma_f64 v[2:3], v[4:5], s[24:25], -v[2:3]
	v_fma_f64 v[4:5], v[4:5], s[20:21], -v[44:45]
	v_fma_f64 v[26:27], v[38:39], s[0:1], v[0:1]
	s_delay_alu instid0(VALU_DEP_4) | instskip(NEXT) | instid1(VALU_DEP_4)
	v_fma_f64 v[14:15], v[34:35], s[0:1], v[14:15]
	v_add_f64 v[28:29], v[2:3], v[10:11]
	s_delay_alu instid0(VALU_DEP_4) | instskip(SKIP_1) | instid1(VALU_DEP_4)
	v_add_f64 v[4:5], v[4:5], v[10:11]
	v_add_nc_u32_e32 v10, 0x405, v106
	v_add_f64 v[0:1], v[14:15], v[8:9]
	s_delay_alu instid0(VALU_DEP_4) | instskip(SKIP_3) | instid1(VALU_DEP_2)
	v_add_f64 v[2:3], v[28:29], -v[26:27]
	global_store_b128 v[24:25], v[0:3], off
	v_fma_f64 v[0:1], v[22:23], s[6:7], -v[16:17]
	v_fma_f64 v[2:3], v[12:13], s[6:7], -v[42:43]
	v_fma_f64 v[12:13], v[38:39], s[0:1], v[0:1]
	s_delay_alu instid0(VALU_DEP_2) | instskip(SKIP_1) | instid1(VALU_DEP_1)
	v_fma_f64 v[16:17], v[34:35], s[0:1], v[2:3]
	v_mad_u64_u32 v[0:1], null, s8, v10, 0
	v_mad_u64_u32 v[2:3], null, s9, v10, v[1:2]
	s_delay_alu instid0(VALU_DEP_1) | instskip(NEXT) | instid1(VALU_DEP_1)
	v_mov_b32_e32 v1, v2
	v_lshlrev_b64 v[0:1], 4, v[0:1]
	s_delay_alu instid0(VALU_DEP_1) | instskip(NEXT) | instid1(VALU_DEP_2)
	v_add_co_u32 v10, vcc_lo, v100, v0
	v_add_co_ci_u32_e32 v11, vcc_lo, v101, v1, vcc_lo
	v_add_f64 v[2:3], v[12:13], v[4:5]
	v_add_f64 v[0:1], v[6:7], -v[16:17]
	global_store_b128 v[10:11], v[0:3], off
	v_add_nc_u32_e32 v10, 0x55c, v106
	v_add_f64 v[2:3], v[4:5], -v[12:13]
	v_add_f64 v[0:1], v[16:17], v[6:7]
	v_add_f64 v[12:13], v[92:93], v[56:57]
	v_add_f64 v[16:17], v[96:97], v[52:53]
	v_mad_u64_u32 v[4:5], null, s8, v10, 0
	s_delay_alu instid0(VALU_DEP_1) | instskip(NEXT) | instid1(VALU_DEP_1)
	v_mad_u64_u32 v[6:7], null, s9, v10, v[5:6]
	v_mov_b32_e32 v5, v6
	s_delay_alu instid0(VALU_DEP_1) | instskip(NEXT) | instid1(VALU_DEP_1)
	v_lshlrev_b64 v[4:5], 4, v[4:5]
	v_add_co_u32 v4, vcc_lo, v100, v4
	s_delay_alu instid0(VALU_DEP_2)
	v_add_co_ci_u32_e32 v5, vcc_lo, v101, v5, vcc_lo
	global_store_b128 v[4:5], v[0:3], off
	v_add_f64 v[0:1], v[8:9], -v[14:15]
	v_add_nc_u32_e32 v8, 0x6b3, v106
	v_add_f64 v[2:3], v[26:27], v[28:29]
	v_add_f64 v[14:15], v[94:95], v[86:87]
	v_add_f64 v[26:27], v[94:95], -v[86:87]
	v_add_f64 v[28:29], v[58:59], -v[88:89]
	v_mad_u64_u32 v[4:5], null, s8, v8, 0
	s_delay_alu instid0(VALU_DEP_1) | instskip(NEXT) | instid1(VALU_DEP_1)
	v_mad_u64_u32 v[6:7], null, s9, v8, v[5:6]
	v_dual_mov_b32 v5, v6 :: v_dual_add_nc_u32 v8, 0x80a, v106
	s_delay_alu instid0(VALU_DEP_1) | instskip(NEXT) | instid1(VALU_DEP_1)
	v_lshlrev_b64 v[4:5], 4, v[4:5]
	v_add_co_u32 v4, vcc_lo, v100, v4
	s_delay_alu instid0(VALU_DEP_2) | instskip(SKIP_4) | instid1(VALU_DEP_1)
	v_add_co_ci_u32_e32 v5, vcc_lo, v101, v5, vcc_lo
	global_store_b128 v[4:5], v[0:3], off
	v_add_f64 v[2:3], v[48:49], v[102:103]
	v_add_f64 v[0:1], v[104:105], -v[98:99]
	v_mad_u64_u32 v[4:5], null, s8, v8, 0
	v_mad_u64_u32 v[6:7], null, s9, v8, v[5:6]
	v_add_f64 v[8:9], v[60:61], v[50:51]
	s_delay_alu instid0(VALU_DEP_2) | instskip(SKIP_1) | instid1(VALU_DEP_2)
	v_mov_b32_e32 v5, v6
	v_add_f64 v[6:7], v[90:91], v[54:55]
	v_lshlrev_b64 v[4:5], 4, v[4:5]
	s_delay_alu instid0(VALU_DEP_1) | instskip(NEXT) | instid1(VALU_DEP_2)
	v_add_co_u32 v4, vcc_lo, v100, v4
	v_add_co_ci_u32_e32 v5, vcc_lo, v101, v5, vcc_lo
	global_store_b128 v[4:5], v[0:3], off
	v_add_f64 v[4:5], v[58:59], v[88:89]
	s_delay_alu instid0(VALU_DEP_1) | instskip(SKIP_1) | instid1(VALU_DEP_2)
	v_add_f64 v[0:1], v[4:5], v[6:7]
	v_add_f64 v[38:39], v[4:5], -v[8:9]
	v_add_f64 v[10:11], v[8:9], v[0:1]
	v_add_f64 v[0:1], v[14:15], v[12:13]
	s_delay_alu instid0(VALU_DEP_2) | instskip(NEXT) | instid1(VALU_DEP_2)
	v_add_f64 v[2:3], v[20:21], v[10:11]
	v_add_f64 v[18:19], v[16:17], v[0:1]
	s_clause 0x1
	scratch_load_b64 v[0:1], off, off offset:80
	scratch_load_b32 v21, off, off offset:452
	v_fma_f64 v[10:11], v[10:11], s[16:17], v[2:3]
	s_waitcnt vmcnt(1)
	v_add_f64 v[0:1], v[0:1], v[18:19]
	s_waitcnt vmcnt(0)
	v_mul_hi_u32 v20, 0xbf112a8b, v21
	s_delay_alu instid0(VALU_DEP_1) | instskip(NEXT) | instid1(VALU_DEP_1)
	v_lshrrev_b32_e32 v20, 8, v20
	v_mad_u32_u24 v98, 0x80a, v20, v21
	s_delay_alu instid0(VALU_DEP_1) | instskip(SKIP_1) | instid1(VALU_DEP_2)
	v_mad_u64_u32 v[20:21], null, s8, v98, 0
	v_add_nc_u32_e32 v24, 0x157, v98
	v_mad_u64_u32 v[22:23], null, s9, v98, v[21:22]
	s_delay_alu instid0(VALU_DEP_1) | instskip(SKIP_1) | instid1(VALU_DEP_2)
	v_mov_b32_e32 v21, v22
	v_fma_f64 v[18:19], v[18:19], s[16:17], v[0:1]
	v_lshlrev_b64 v[20:21], 4, v[20:21]
	s_delay_alu instid0(VALU_DEP_1) | instskip(NEXT) | instid1(VALU_DEP_2)
	v_add_co_u32 v20, vcc_lo, v100, v20
	v_add_co_ci_u32_e32 v21, vcc_lo, v101, v21, vcc_lo
	global_store_b128 v[20:21], v[0:3], off
	v_add_f64 v[0:1], v[96:97], -v[52:53]
	v_add_f64 v[20:21], v[92:93], -v[56:57]
	v_mad_u64_u32 v[2:3], null, s8, v24, 0
	s_delay_alu instid0(VALU_DEP_1) | instskip(SKIP_2) | instid1(VALU_DEP_3)
	v_mad_u64_u32 v[22:23], null, s9, v24, v[3:4]
	v_add_f64 v[24:25], v[60:61], -v[50:51]
	v_add_f64 v[4:5], v[6:7], -v[4:5]
	v_mov_b32_e32 v3, v22
	v_add_f64 v[22:23], v[90:91], -v[54:55]
	s_delay_alu instid0(VALU_DEP_2) | instskip(NEXT) | instid1(VALU_DEP_1)
	v_lshlrev_b64 v[2:3], 4, v[2:3]
	v_add_co_u32 v30, vcc_lo, v100, v2
	s_delay_alu instid0(VALU_DEP_2)
	v_add_co_ci_u32_e32 v31, vcc_lo, v101, v3, vcc_lo
	v_add_f64 v[34:35], v[26:27], -v[0:1]
	v_add_f64 v[2:3], v[0:1], v[20:21]
	v_add_f64 v[32:33], v[0:1], -v[20:21]
	v_add_f64 v[0:1], v[8:9], -v[6:7]
	;; [unrolled: 1-line block ×6, first 2 shown]
	v_add_f64 v[36:37], v[26:27], v[2:3]
	v_add_f64 v[2:3], v[16:17], -v[12:13]
	v_mul_f64 v[16:17], v[32:33], s[12:13]
	v_add_f64 v[32:33], v[24:25], v[22:23]
	v_add_f64 v[24:25], v[28:29], -v[24:25]
	v_mul_f64 v[42:43], v[0:1], s[22:23]
	v_add_f64 v[12:13], v[22:23], -v[28:29]
	v_add_nc_u32_e32 v22, 0x2ae, v98
	v_mul_f64 v[40:41], v[40:41], s[12:13]
	v_mul_f64 v[44:45], v[2:3], s[22:23]
	v_fma_f64 v[0:1], v[34:35], s[2:3], v[16:17]
	v_add_f64 v[32:33], v[28:29], v[32:33]
	s_delay_alu instid0(VALU_DEP_2) | instskip(SKIP_1) | instid1(VALU_DEP_1)
	v_fma_f64 v[46:47], v[36:37], s[0:1], v[0:1]
	v_fma_f64 v[0:1], v[24:25], s[2:3], v[40:41]
	;; [unrolled: 1-line block ×4, first 2 shown]
	s_delay_alu instid0(VALU_DEP_1) | instskip(SKIP_2) | instid1(VALU_DEP_3)
	v_add_f64 v[50:51], v[0:1], v[10:11]
	v_fma_f64 v[0:1], v[8:9], s[18:19], v[44:45]
	v_mul_f64 v[8:9], v[8:9], s[18:19]
	v_add_f64 v[2:3], v[50:51], -v[46:47]
	s_delay_alu instid0(VALU_DEP_3) | instskip(NEXT) | instid1(VALU_DEP_3)
	v_add_f64 v[52:53], v[0:1], v[18:19]
	v_fma_f64 v[8:9], v[6:7], s[24:25], -v[8:9]
	v_fma_f64 v[6:7], v[6:7], s[20:21], -v[44:45]
	s_delay_alu instid0(VALU_DEP_3) | instskip(NEXT) | instid1(VALU_DEP_3)
	v_add_f64 v[0:1], v[48:49], v[52:53]
	v_add_f64 v[8:9], v[8:9], v[18:19]
	s_delay_alu instid0(VALU_DEP_3)
	v_add_f64 v[6:7], v[6:7], v[18:19]
	v_add_f64 v[18:19], v[66:67], -v[76:77]
	global_store_b128 v[30:31], v[0:3], off
	v_mad_u64_u32 v[2:3], null, s8, v22, 0
	v_mul_f64 v[0:1], v[20:21], s[6:7]
	v_add_f64 v[30:31], v[64:65], v[74:75]
	s_delay_alu instid0(VALU_DEP_3) | instskip(NEXT) | instid1(VALU_DEP_1)
	v_mad_u64_u32 v[14:15], null, s9, v22, v[3:4]
	v_mov_b32_e32 v3, v14
	v_mul_f64 v[14:15], v[12:13], s[6:7]
	s_delay_alu instid0(VALU_DEP_2) | instskip(NEXT) | instid1(VALU_DEP_1)
	v_lshlrev_b64 v[2:3], 4, v[2:3]
	v_add_co_u32 v22, vcc_lo, v100, v2
	s_delay_alu instid0(VALU_DEP_2) | instskip(SKIP_4) | instid1(VALU_DEP_4)
	v_add_co_ci_u32_e32 v23, vcc_lo, v101, v3, vcc_lo
	v_mul_f64 v[2:3], v[38:39], s[18:19]
	v_fma_f64 v[0:1], v[34:35], s[14:15], -v[0:1]
	v_add_f64 v[34:35], v[80:81], -v[70:71]
	v_fma_f64 v[14:15], v[24:25], s[14:15], -v[14:15]
	v_fma_f64 v[2:3], v[4:5], s[24:25], -v[2:3]
	;; [unrolled: 1-line block ×3, first 2 shown]
	v_fma_f64 v[24:25], v[36:37], s[0:1], v[0:1]
	s_delay_alu instid0(VALU_DEP_4) | instskip(NEXT) | instid1(VALU_DEP_4)
	v_fma_f64 v[14:15], v[32:33], s[0:1], v[14:15]
	v_add_f64 v[26:27], v[2:3], v[10:11]
	s_delay_alu instid0(VALU_DEP_4) | instskip(SKIP_1) | instid1(VALU_DEP_4)
	v_add_f64 v[4:5], v[4:5], v[10:11]
	v_add_nc_u32_e32 v10, 0x405, v98
	v_add_f64 v[0:1], v[14:15], v[8:9]
	s_delay_alu instid0(VALU_DEP_4)
	v_add_f64 v[2:3], v[26:27], -v[24:25]
	global_store_b128 v[22:23], v[0:3], off
	v_fma_f64 v[0:1], v[20:21], s[6:7], -v[16:17]
	v_fma_f64 v[2:3], v[12:13], s[6:7], -v[40:41]
	v_add_f64 v[20:21], v[82:83], v[84:85]
	v_add_f64 v[22:23], v[82:83], -v[84:85]
	s_delay_alu instid0(VALU_DEP_4) | instskip(NEXT) | instid1(VALU_DEP_4)
	v_fma_f64 v[12:13], v[36:37], s[0:1], v[0:1]
	v_fma_f64 v[16:17], v[32:33], s[0:1], v[2:3]
	v_mad_u64_u32 v[0:1], null, s8, v10, 0
	s_delay_alu instid0(VALU_DEP_1) | instskip(NEXT) | instid1(VALU_DEP_1)
	v_mad_u64_u32 v[2:3], null, s9, v10, v[1:2]
	v_mov_b32_e32 v1, v2
	s_delay_alu instid0(VALU_DEP_1) | instskip(NEXT) | instid1(VALU_DEP_1)
	v_lshlrev_b64 v[0:1], 4, v[0:1]
	v_add_co_u32 v10, vcc_lo, v100, v0
	s_delay_alu instid0(VALU_DEP_2)
	v_add_co_ci_u32_e32 v11, vcc_lo, v101, v1, vcc_lo
	v_add_f64 v[2:3], v[12:13], v[4:5]
	v_add_f64 v[0:1], v[6:7], -v[16:17]
	global_store_b128 v[10:11], v[0:3], off
	v_add_nc_u32_e32 v10, 0x55c, v98
	v_add_f64 v[2:3], v[4:5], -v[12:13]
	v_add_f64 v[0:1], v[16:17], v[6:7]
	v_add_f64 v[12:13], v[80:81], v[70:71]
	;; [unrolled: 1-line block ×3, first 2 shown]
	v_mad_u64_u32 v[4:5], null, s8, v10, 0
	s_delay_alu instid0(VALU_DEP_1) | instskip(SKIP_1) | instid1(VALU_DEP_2)
	v_mad_u64_u32 v[6:7], null, s9, v10, v[5:6]
	v_add_f64 v[10:11], v[68:69], -v[78:79]
	v_mov_b32_e32 v5, v6
	s_delay_alu instid0(VALU_DEP_1) | instskip(NEXT) | instid1(VALU_DEP_1)
	v_lshlrev_b64 v[4:5], 4, v[4:5]
	v_add_co_u32 v4, vcc_lo, v100, v4
	s_delay_alu instid0(VALU_DEP_2)
	v_add_co_ci_u32_e32 v5, vcc_lo, v101, v5, vcc_lo
	global_store_b128 v[4:5], v[0:3], off
	v_add_f64 v[0:1], v[8:9], -v[14:15]
	v_add_nc_u32_e32 v8, 0x6b3, v98
	v_add_f64 v[2:3], v[24:25], v[26:27]
	v_add_f64 v[14:15], v[68:69], v[78:79]
	v_add_f64 v[24:25], v[62:63], -v[72:73]
	v_add_f64 v[26:27], v[62:63], v[72:73]
	v_add_f64 v[32:33], v[12:13], v[16:17]
	v_mad_u64_u32 v[4:5], null, s8, v8, 0
	s_delay_alu instid0(VALU_DEP_1) | instskip(NEXT) | instid1(VALU_DEP_1)
	v_mad_u64_u32 v[6:7], null, s9, v8, v[5:6]
	v_mov_b32_e32 v5, v6
	s_delay_alu instid0(VALU_DEP_1) | instskip(NEXT) | instid1(VALU_DEP_1)
	v_lshlrev_b64 v[4:5], 4, v[4:5]
	v_add_co_u32 v4, vcc_lo, v100, v4
	s_delay_alu instid0(VALU_DEP_2) | instskip(SKIP_4) | instid1(VALU_DEP_3)
	v_add_co_ci_u32_e32 v5, vcc_lo, v101, v5, vcc_lo
	global_store_b128 v[4:5], v[0:3], off
	v_add_nc_u32_e32 v1, 0x80a, v98
	v_add_f64 v[40:41], v[34:35], -v[24:25]
	v_add_f64 v[2:3], v[46:47], v[50:51]
	v_mad_u64_u32 v[8:9], null, s8, v1, 0
	s_delay_alu instid0(VALU_DEP_1) | instskip(NEXT) | instid1(VALU_DEP_1)
	v_mov_b32_e32 v0, v9
	v_mad_u64_u32 v[4:5], null, s9, v1, v[0:1]
	v_add_f64 v[0:1], v[52:53], -v[48:49]
	v_add_f64 v[5:6], v[64:65], -v[74:75]
	s_delay_alu instid0(VALU_DEP_3) | instskip(NEXT) | instid1(VALU_DEP_1)
	v_mov_b32_e32 v9, v4
	v_lshlrev_b64 v[8:9], 4, v[8:9]
	s_delay_alu instid0(VALU_DEP_1) | instskip(NEXT) | instid1(VALU_DEP_2)
	v_add_co_u32 v8, vcc_lo, v100, v8
	v_add_co_ci_u32_e32 v9, vcc_lo, v101, v9, vcc_lo
	global_store_b128 v[8:9], v[0:3], off
	v_add_f64 v[28:29], v[5:6], v[10:11]
	v_add_f64 v[36:37], v[22:23], -v[5:6]
	v_add_f64 v[38:39], v[5:6], -v[10:11]
	v_add_f64 v[4:5], v[20:21], v[14:15]
	v_add_f64 v[10:11], v[10:11], -v[22:23]
	v_add_f64 v[22:23], v[22:23], v[28:29]
	v_add_f64 v[28:29], v[12:13], -v[26:27]
	v_add_f64 v[12:13], v[16:17], -v[12:13]
	;; [unrolled: 1-line block ×3, first 2 shown]
	v_add_f64 v[26:27], v[26:27], v[32:33]
	v_add_f64 v[32:33], v[20:21], -v[30:31]
	v_add_f64 v[20:21], v[14:15], -v[20:21]
	;; [unrolled: 1-line block ×3, first 2 shown]
	v_add_f64 v[30:31], v[30:31], v[4:5]
	v_add_f64 v[4:5], v[24:25], v[18:19]
	v_add_f64 v[24:25], v[24:25], -v[18:19]
	v_add_f64 v[18:19], v[18:19], -v[34:35]
	v_mul_f64 v[42:43], v[28:29], s[18:19]
	v_mul_f64 v[16:17], v[16:17], s[22:23]
	;; [unrolled: 1-line block ×3, first 2 shown]
	v_add_f64 v[34:35], v[34:35], v[4:5]
	scratch_load_b32 v5, off, off offset:556 ; 4-byte Folded Reload
	v_mul_i32_i24_e32 v4, 0xffffffd0, v206
	v_fma_f64 v[42:43], v[12:13], s[24:25], -v[42:43]
	v_fma_f64 v[28:29], v[28:29], s[18:19], v[16:17]
	v_fma_f64 v[12:13], v[12:13], s[20:21], -v[16:17]
	v_mul_f64 v[16:17], v[38:39], s[12:13]
	v_mul_f64 v[38:39], v[10:11], s[6:7]
	s_delay_alu instid0(VALU_DEP_2) | instskip(NEXT) | instid1(VALU_DEP_2)
	v_fma_f64 v[10:11], v[10:11], s[6:7], -v[16:17]
	v_fma_f64 v[38:39], v[36:37], s[14:15], -v[38:39]
	v_fma_f64 v[36:37], v[36:37], s[2:3], v[16:17]
	v_mul_f64 v[16:17], v[32:33], s[18:19]
	v_fma_f64 v[32:33], v[32:33], s[18:19], v[14:15]
	v_fma_f64 v[14:15], v[20:21], s[20:21], -v[14:15]
	v_fma_f64 v[10:11], v[22:23], s[0:1], v[10:11]
	s_delay_alu instid0(VALU_DEP_4) | instskip(SKIP_2) | instid1(VALU_DEP_2)
	v_fma_f64 v[16:17], v[20:21], s[24:25], -v[16:17]
	v_mul_f64 v[20:21], v[24:25], s[12:13]
	v_mul_f64 v[24:25], v[18:19], s[6:7]
	v_fma_f64 v[18:19], v[18:19], s[6:7], -v[20:21]
	s_delay_alu instid0(VALU_DEP_2)
	v_fma_f64 v[24:25], v[40:41], s[14:15], -v[24:25]
	v_fma_f64 v[40:41], v[40:41], s[2:3], v[20:21]
	v_fma_f64 v[20:21], v[22:23], s[0:1], v[36:37]
	;; [unrolled: 1-line block ×3, first 2 shown]
	scratch_load_b32 v39, off, off offset:448 ; 4-byte Folded Reload
	v_fma_f64 v[18:19], v[34:35], s[0:1], v[18:19]
	v_fma_f64 v[24:25], v[34:35], s[0:1], v[24:25]
	s_waitcnt vmcnt(1)
	v_add_nc_u32_e32 v4, v5, v4
	ds_load_b64 v[4:5], v4
	s_waitcnt lgkmcnt(0)
	v_add_f64 v[6:7], v[4:5], v[26:27]
	scratch_load_b64 v[4:5], off, off offset:72 ; 8-byte Folded Reload
	v_fma_f64 v[22:23], v[26:27], s[16:17], v[6:7]
	s_delay_alu instid0(VALU_DEP_1) | instskip(SKIP_1) | instid1(VALU_DEP_2)
	v_add_f64 v[28:29], v[28:29], v[22:23]
	v_add_f64 v[12:13], v[12:13], v[22:23]
	v_add_f64 v[2:3], v[28:29], -v[20:21]
	s_waitcnt vmcnt(0)
	v_add_f64 v[4:5], v[4:5], v[30:31]
	s_delay_alu instid0(VALU_DEP_1) | instskip(SKIP_1) | instid1(VALU_DEP_1)
	v_fma_f64 v[26:27], v[30:31], s[16:17], v[4:5]
	v_mul_hi_u32 v30, 0xbf112a8b, v39
	v_lshrrev_b32_e32 v38, 8, v30
	v_fma_f64 v[30:31], v[34:35], s[0:1], v[40:41]
	s_delay_alu instid0(VALU_DEP_2) | instskip(SKIP_1) | instid1(VALU_DEP_2)
	v_mad_u32_u24 v40, 0x80a, v38, v39
	v_add_f64 v[38:39], v[42:43], v[22:23]
	v_add_nc_u32_e32 v41, 0x157, v40
	v_mad_u64_u32 v[22:23], null, s8, v40, 0
	s_delay_alu instid0(VALU_DEP_1) | instskip(NEXT) | instid1(VALU_DEP_1)
	v_mad_u64_u32 v[34:35], null, s9, v40, v[23:24]
	v_mov_b32_e32 v23, v34
	v_add_f64 v[32:33], v[32:33], v[26:27]
	v_add_f64 v[14:15], v[14:15], v[26:27]
	;; [unrolled: 1-line block ×3, first 2 shown]
	v_mad_u64_u32 v[26:27], null, s8, v41, 0
	v_lshlrev_b64 v[22:23], 4, v[22:23]
	s_delay_alu instid0(VALU_DEP_2) | instskip(NEXT) | instid1(VALU_DEP_1)
	v_mov_b32_e32 v8, v27
	v_mad_u64_u32 v[34:35], null, s9, v41, v[8:9]
	s_delay_alu instid0(VALU_DEP_3) | instskip(SKIP_2) | instid1(VALU_DEP_4)
	v_add_co_u32 v8, vcc_lo, v100, v22
	v_add_nc_u32_e32 v41, 0x2ae, v40
	v_add_co_ci_u32_e32 v9, vcc_lo, v101, v23, vcc_lo
	v_mov_b32_e32 v27, v34
	global_store_b128 v[8:9], v[4:7], off
	v_add_f64 v[6:7], v[12:13], -v[10:11]
	v_add_f64 v[10:11], v[10:11], v[12:13]
	v_lshlrev_b64 v[22:23], 4, v[26:27]
	v_mad_u64_u32 v[26:27], null, s8, v41, 0
	s_delay_alu instid0(VALU_DEP_2) | instskip(NEXT) | instid1(VALU_DEP_3)
	v_add_co_u32 v22, vcc_lo, v100, v22
	v_add_co_ci_u32_e32 v23, vcc_lo, v101, v23, vcc_lo
	v_add_f64 v[0:1], v[30:31], v[32:33]
	v_add_f64 v[4:5], v[18:19], v[14:15]
	v_add_f64 v[8:9], v[14:15], -v[18:19]
	v_add_f64 v[14:15], v[36:37], v[38:39]
	v_add_f64 v[18:19], v[38:39], -v[36:37]
	v_add_nc_u32_e32 v36, 0x405, v40
	v_add_nc_u32_e32 v38, 0x55c, v40
	;; [unrolled: 1-line block ×3, first 2 shown]
	v_add_f64 v[12:13], v[16:17], -v[24:25]
	v_add_f64 v[16:17], v[24:25], v[16:17]
	v_add_nc_u32_e32 v40, 0x80a, v40
	v_mad_u64_u32 v[34:35], null, s8, v36, 0
	global_store_b128 v[22:23], v[0:3], off
	v_add_f64 v[2:3], v[20:21], v[28:29]
	v_mov_b32_e32 v0, v27
	v_mad_u64_u32 v[22:23], null, s8, v38, 0
	v_mov_b32_e32 v1, v35
	v_mad_u64_u32 v[28:29], null, s8, v39, 0
	s_delay_alu instid0(VALU_DEP_2) | instskip(NEXT) | instid1(VALU_DEP_1)
	v_mad_u64_u32 v[20:21], null, s9, v41, v[0:1]
	v_dual_mov_b32 v0, v23 :: v_dual_mov_b32 v27, v20
	v_mad_u64_u32 v[20:21], null, s8, v40, 0
	s_delay_alu instid0(VALU_DEP_2) | instskip(SKIP_1) | instid1(VALU_DEP_4)
	v_lshlrev_b64 v[26:27], 4, v[26:27]
	v_mad_u64_u32 v[24:25], null, s9, v36, v[1:2]
	v_mad_u64_u32 v[36:37], null, s9, v38, v[0:1]
	v_add_f64 v[0:1], v[32:33], -v[30:31]
	v_mov_b32_e32 v25, v29
	s_delay_alu instid0(VALU_DEP_4) | instskip(SKIP_1) | instid1(VALU_DEP_3)
	v_mov_b32_e32 v35, v24
	v_add_co_u32 v24, vcc_lo, v100, v26
	v_mad_u64_u32 v[29:30], null, s9, v39, v[25:26]
	v_mad_u64_u32 v[30:31], null, s9, v40, v[21:22]
	v_mov_b32_e32 v23, v36
	v_add_co_ci_u32_e32 v25, vcc_lo, v101, v27, vcc_lo
	v_lshlrev_b64 v[26:27], 4, v[34:35]
	v_lshlrev_b64 v[28:29], 4, v[28:29]
	s_delay_alu instid0(VALU_DEP_4) | instskip(SKIP_1) | instid1(VALU_DEP_4)
	v_lshlrev_b64 v[22:23], 4, v[22:23]
	v_mov_b32_e32 v21, v30
	v_add_co_u32 v26, vcc_lo, v100, v26
	s_delay_alu instid0(VALU_DEP_2)
	v_lshlrev_b64 v[20:21], 4, v[20:21]
	v_add_co_ci_u32_e32 v27, vcc_lo, v101, v27, vcc_lo
	v_add_co_u32 v22, vcc_lo, v100, v22
	v_add_co_ci_u32_e32 v23, vcc_lo, v101, v23, vcc_lo
	v_add_co_u32 v28, vcc_lo, v100, v28
	;; [unrolled: 2-line block ×3, first 2 shown]
	v_add_co_ci_u32_e32 v21, vcc_lo, v101, v21, vcc_lo
	s_clause 0x4
	global_store_b128 v[24:25], v[16:19], off
	global_store_b128 v[26:27], v[8:11], off
	;; [unrolled: 1-line block ×5, first 2 shown]
.LBB0_15:
	s_nop 0
	s_sendmsg sendmsg(MSG_DEALLOC_VGPRS)
	s_endpgm
	.section	.rodata,"a",@progbits
	.p2align	6, 0x0
	.amdhsa_kernel fft_rtc_fwd_len2401_factors_7_7_7_7_wgs_49_tpt_49_halfLds_dp_ip_CI_sbrr_dirReg
		.amdhsa_group_segment_fixed_size 0
		.amdhsa_private_segment_fixed_size 568
		.amdhsa_kernarg_size 88
		.amdhsa_user_sgpr_count 15
		.amdhsa_user_sgpr_dispatch_ptr 0
		.amdhsa_user_sgpr_queue_ptr 0
		.amdhsa_user_sgpr_kernarg_segment_ptr 1
		.amdhsa_user_sgpr_dispatch_id 0
		.amdhsa_user_sgpr_private_segment_size 0
		.amdhsa_wavefront_size32 1
		.amdhsa_uses_dynamic_stack 0
		.amdhsa_enable_private_segment 1
		.amdhsa_system_sgpr_workgroup_id_x 1
		.amdhsa_system_sgpr_workgroup_id_y 0
		.amdhsa_system_sgpr_workgroup_id_z 0
		.amdhsa_system_sgpr_workgroup_info 0
		.amdhsa_system_vgpr_workitem_id 0
		.amdhsa_next_free_vgpr 256
		.amdhsa_next_free_sgpr 27
		.amdhsa_reserve_vcc 1
		.amdhsa_float_round_mode_32 0
		.amdhsa_float_round_mode_16_64 0
		.amdhsa_float_denorm_mode_32 3
		.amdhsa_float_denorm_mode_16_64 3
		.amdhsa_dx10_clamp 1
		.amdhsa_ieee_mode 1
		.amdhsa_fp16_overflow 0
		.amdhsa_workgroup_processor_mode 1
		.amdhsa_memory_ordered 1
		.amdhsa_forward_progress 0
		.amdhsa_shared_vgpr_count 0
		.amdhsa_exception_fp_ieee_invalid_op 0
		.amdhsa_exception_fp_denorm_src 0
		.amdhsa_exception_fp_ieee_div_zero 0
		.amdhsa_exception_fp_ieee_overflow 0
		.amdhsa_exception_fp_ieee_underflow 0
		.amdhsa_exception_fp_ieee_inexact 0
		.amdhsa_exception_int_div_zero 0
	.end_amdhsa_kernel
	.text
.Lfunc_end0:
	.size	fft_rtc_fwd_len2401_factors_7_7_7_7_wgs_49_tpt_49_halfLds_dp_ip_CI_sbrr_dirReg, .Lfunc_end0-fft_rtc_fwd_len2401_factors_7_7_7_7_wgs_49_tpt_49_halfLds_dp_ip_CI_sbrr_dirReg
                                        ; -- End function
	.section	.AMDGPU.csdata,"",@progbits
; Kernel info:
; codeLenInByte = 41984
; NumSgprs: 29
; NumVgprs: 256
; ScratchSize: 568
; MemoryBound: 1
; FloatMode: 240
; IeeeMode: 1
; LDSByteSize: 0 bytes/workgroup (compile time only)
; SGPRBlocks: 3
; VGPRBlocks: 31
; NumSGPRsForWavesPerEU: 29
; NumVGPRsForWavesPerEU: 256
; Occupancy: 5
; WaveLimiterHint : 1
; COMPUTE_PGM_RSRC2:SCRATCH_EN: 1
; COMPUTE_PGM_RSRC2:USER_SGPR: 15
; COMPUTE_PGM_RSRC2:TRAP_HANDLER: 0
; COMPUTE_PGM_RSRC2:TGID_X_EN: 1
; COMPUTE_PGM_RSRC2:TGID_Y_EN: 0
; COMPUTE_PGM_RSRC2:TGID_Z_EN: 0
; COMPUTE_PGM_RSRC2:TIDIG_COMP_CNT: 0
	.text
	.p2alignl 7, 3214868480
	.fill 96, 4, 3214868480
	.type	__hip_cuid_caebf3d557fa37af,@object ; @__hip_cuid_caebf3d557fa37af
	.section	.bss,"aw",@nobits
	.globl	__hip_cuid_caebf3d557fa37af
__hip_cuid_caebf3d557fa37af:
	.byte	0                               ; 0x0
	.size	__hip_cuid_caebf3d557fa37af, 1

	.ident	"AMD clang version 19.0.0git (https://github.com/RadeonOpenCompute/llvm-project roc-6.4.0 25133 c7fe45cf4b819c5991fe208aaa96edf142730f1d)"
	.section	".note.GNU-stack","",@progbits
	.addrsig
	.addrsig_sym __hip_cuid_caebf3d557fa37af
	.amdgpu_metadata
---
amdhsa.kernels:
  - .args:
      - .actual_access:  read_only
        .address_space:  global
        .offset:         0
        .size:           8
        .value_kind:     global_buffer
      - .offset:         8
        .size:           8
        .value_kind:     by_value
      - .actual_access:  read_only
        .address_space:  global
        .offset:         16
        .size:           8
        .value_kind:     global_buffer
      - .actual_access:  read_only
        .address_space:  global
        .offset:         24
        .size:           8
        .value_kind:     global_buffer
      - .offset:         32
        .size:           8
        .value_kind:     by_value
      - .actual_access:  read_only
        .address_space:  global
        .offset:         40
        .size:           8
        .value_kind:     global_buffer
      - .actual_access:  read_only
        .address_space:  global
        .offset:         48
        .size:           8
        .value_kind:     global_buffer
      - .offset:         56
        .size:           4
        .value_kind:     by_value
      - .actual_access:  read_only
        .address_space:  global
        .offset:         64
        .size:           8
        .value_kind:     global_buffer
      - .actual_access:  read_only
        .address_space:  global
        .offset:         72
        .size:           8
        .value_kind:     global_buffer
      - .address_space:  global
        .offset:         80
        .size:           8
        .value_kind:     global_buffer
    .group_segment_fixed_size: 0
    .kernarg_segment_align: 8
    .kernarg_segment_size: 88
    .language:       OpenCL C
    .language_version:
      - 2
      - 0
    .max_flat_workgroup_size: 49
    .name:           fft_rtc_fwd_len2401_factors_7_7_7_7_wgs_49_tpt_49_halfLds_dp_ip_CI_sbrr_dirReg
    .private_segment_fixed_size: 568
    .sgpr_count:     29
    .sgpr_spill_count: 0
    .symbol:         fft_rtc_fwd_len2401_factors_7_7_7_7_wgs_49_tpt_49_halfLds_dp_ip_CI_sbrr_dirReg.kd
    .uniform_work_group_size: 1
    .uses_dynamic_stack: false
    .vgpr_count:     256
    .vgpr_spill_count: 208
    .wavefront_size: 32
    .workgroup_processor_mode: 1
amdhsa.target:   amdgcn-amd-amdhsa--gfx1100
amdhsa.version:
  - 1
  - 2
...

	.end_amdgpu_metadata
